;; amdgpu-corpus repo=ROCm/aiter kind=harvested arch=n/a opt=n/a

/root/src/amdgpu-assembly/repos/ROCm__aiter/hsa/gfx950/fmha_v3_bwd/bwd_hd64_bf16_causal_br_a32_rtz_pssk.co:	file format elf64-amdgpu

Disassembly of section .text:

0000000000004000 <_ZN5aiter51fmha_bwd_hd64_bf16_causal_br_a32_rtz_pssk_recompileE>:
	s_and_b32 s1, s1, 0xffff                                   // 000000004000: 8601FF01 0000FFFF
	s_load_dwordx2 s[32:33], s[0:1], 0x0                       // 000000004008: C0060800 00000000
	s_load_dwordx2 s[36:37], s[0:1], 0x10                      // 000000004010: C0060900 00000010
	s_load_dwordx2 s[40:41], s[0:1], 0x20                      // 000000004018: C0060A00 00000020
	s_load_dwordx2 s[8:9], s[0:1], 0x30                        // 000000004020: C0060200 00000030
	s_load_dwordx2 s[12:13], s[0:1], 0x40                      // 000000004028: C0060300 00000040
	s_load_dwordx2 s[16:17], s[0:1], 0x50                      // 000000004030: C0060400 00000050
	s_load_dwordx2 s[20:21], s[0:1], 0x60                      // 000000004038: C0060500 00000060
	s_load_dwordx2 s[24:25], s[0:1], 0x70                      // 000000004040: C0060600 00000070
	s_load_dwordx2 s[28:29], s[0:1], 0x80                      // 000000004048: C0060700 00000080
	s_load_dword s47, s[0:1], 0x90                             // 000000004050: C0020BC0 00000090
	s_load_dword s48, s[0:1], 0xa0                             // 000000004058: C0020C00 000000A0
	s_load_dword s49, s[0:1], 0xb0                             // 000000004060: C0020C40 000000B0
	s_load_dword s78, s[0:1], 0xd0                             // 000000004068: C0021380 000000D0
	s_load_dword s79, s[0:1], 0xe0                             // 000000004070: C00213C0 000000E0
	s_load_dword s5, s[0:1], 0xf0                              // 000000004078: C0020140 000000F0
	s_load_dword s44, s[0:1], 0x100                            // 000000004080: C0020B00 00000100
	s_load_dword s80, s[0:1], 0x110                            // 000000004088: C0021400 00000110
	s_load_dword s81, s[0:1], 0x120                            // 000000004090: C0021440 00000120
	s_load_dword s6, s[0:1], 0x130                             // 000000004098: C0020180 00000130
	s_load_dword s52, s[0:1], 0x140                            // 0000000040A0: C0020D00 00000140
	s_load_dword s50, s[0:1], 0x150                            // 0000000040A8: C0020C80 00000150
	s_load_dword s98, s[0:1], 0x160                            // 0000000040B0: C0021880 00000160
	s_load_dword s100, s[0:1], 0x180                           // 0000000040B8: C0021900 00000180
	s_load_dword s90, s[0:1], 0x190                            // 0000000040C0: C0021680 00000190
	s_load_dword s91, s[0:1], 0x1a0                            // 0000000040C8: C00216C0 000001A0
	s_load_dword s7, s[0:1], 0x1b0                             // 0000000040D0: C00201C0 000001B0
	s_load_dword s92, s[0:1], 0x1c0                            // 0000000040D8: C0021700 000001C0
	s_load_dword s93, s[0:1], 0x1d0                            // 0000000040E0: C0021740 000001D0
	s_load_dword s51, s[0:1], 0x1e0                            // 0000000040E8: C0020CC0 000001E0
	s_load_dword s94, s[0:1], 0x1f0                            // 0000000040F0: C0021780 000001F0
	s_load_dword s95, s[0:1], 0x200                            // 0000000040F8: C00217C0 00000200
	s_load_dword s96, s[0:1], 0x210                            // 000000004100: C0021800 00000210
	s_load_dword s97, s[0:1], 0x220                            // 000000004108: C0021840 00000220
	s_load_dword s53, s[0:1], 0x230                            // 000000004110: C0020D40 00000230
	v_lshrrev_b32_e32 v1, 10, v0                               // 000000004118: 2002008A
	v_lshrrev_b32_e32 v2, 10, v1                               // 00000000411C: 2004028A
	v_and_b32_e32 v2, 0x3ff, v2                                // 000000004120: 260404FF 000003FF
	v_and_b32_e32 v1, 0x3ff, v1                                // 000000004128: 260202FF 000003FF
	v_and_b32_e32 v0, 0x3ff, v0                                // 000000004130: 260000FF 000003FF
	v_lshrrev_b32_e32 v3, 6, v0                                // 000000004138: 20060086
	v_and_b32_e32 v0, 63, v0                                   // 00000000413C: 260000BF
	s_mov_b32 s2, s2                                           // 000000004140: BE820002
	s_mov_b32 s3, s3                                           // 000000004144: BE830003
	s_mov_b32 s4, s4                                           // 000000004148: BE840004
	v_readfirstlane_b32 s46, v3                                // 00000000414C: 7E5C0503
	s_waitcnt lgkmcnt(0)                                       // 000000004150: BF8CC07F
	s_mov_b32 s11, 0x20000                                     // 000000004154: BE8B00FF 00020000
	s_mov_b32 s15, 0x20000                                     // 00000000415C: BE8F00FF 00020000
	s_mov_b32 s19, 0x20000                                     // 000000004164: BE9300FF 00020000
	s_mov_b32 s23, 0x20000                                     // 00000000416C: BE9700FF 00020000
	s_mov_b32 s27, 0x20000                                     // 000000004174: BE9B00FF 00020000
	s_mov_b32 s31, 0x20000                                     // 00000000417C: BE9F00FF 00020000
	s_mov_b32 s35, 0x20000                                     // 000000004184: BEA300FF 00020000
	s_mov_b32 s39, 0x20000                                     // 00000000418C: BEA700FF 00020000
	s_mov_b32 s43, 0x20000                                     // 000000004194: BEAB00FF 00020000
	s_and_b32 s9, s9, 0xffff                                   // 00000000419C: 8609FF09 0000FFFF
	s_and_b32 s13, s13, 0xffff                                 // 0000000041A4: 860DFF0D 0000FFFF
	s_and_b32 s17, s17, 0xffff                                 // 0000000041AC: 8611FF11 0000FFFF
	s_and_b32 s21, s21, 0xffff                                 // 0000000041B4: 8615FF15 0000FFFF
	s_and_b32 s25, s25, 0xffff                                 // 0000000041BC: 8619FF19 0000FFFF
	s_and_b32 s29, s29, 0xffff                                 // 0000000041C4: 861DFF1D 0000FFFF
	s_and_b32 s33, s33, 0xffff                                 // 0000000041CC: 8621FF21 0000FFFF
	s_and_b32 s37, s37, 0xffff                                 // 0000000041D4: 8625FF25 0000FFFF
	s_and_b32 s41, s41, 0xffff                                 // 0000000041DC: 8629FF29 0000FFFF
	s_or_b32 s9, s9, 0x40000                                   // 0000000041E4: 8709FF09 00040000
	s_or_b32 s13, s13, 0x40000                                 // 0000000041EC: 870DFF0D 00040000
	s_or_b32 s17, s17, 0x40000                                 // 0000000041F4: 8711FF11 00040000
	s_or_b32 s21, s21, 0x40000                                 // 0000000041FC: 8715FF15 00040000
	s_or_b32 s25, s25, 0x40000                                 // 000000004204: 8719FF19 00040000
	s_or_b32 s29, s29, 0x40000                                 // 00000000420C: 871DFF1D 00040000
	s_or_b32 s33, s33, 0x40000                                 // 000000004214: 8721FF21 00040000
	s_or_b32 s37, s37, 0x40000                                 // 00000000421C: 8725FF25 00040000
	s_or_b32 s41, s41, 0x40000                                 // 000000004224: 8729FF29 00040000
	v_accvgpr_write_b32 a159, 0                                // 00000000422C: D3D9409F 18000080
	v_mov_b32_e32 v236, 0                                      // 000000004234: 7FD80280
	s_mov_b32 s71, s3                                          // 000000004238: BEC70003
	v_cvt_f32_u32_e32 v32, s44                                 // 00000000423C: 7E400C2C
	s_sub_i32 s60, 0, s44                                      // 000000004240: 81BC2C80
	v_rcp_iflag_f32_e32 v32, v32                               // 000000004244: 7E404720
	s_nop 0                                                    // 000000004248: BF800000
	v_mul_f32_e32 v32, 0x4f7ffffe, v32                         // 00000000424C: 0A4040FF 4F7FFFFE
	v_cvt_u32_f32_e32 v32, v32                                 // 000000004254: 7E400F20
	v_mul_lo_u32 v33, s60, v32                                 // 000000004258: D2850021 0002403C
	v_mul_hi_u32 v33, v32, v33                                 // 000000004260: D2860021 00024320
	v_add_u32_e32 v32, v32, v33                                // 000000004268: 68404320
	v_mul_hi_u32 v32, s71, v32                                 // 00000000426C: D2860020 00024047
	v_mul_lo_u32 v33, v32, s44                                 // 000000004274: D2850021 00005920
	v_sub_u32_e32 v35, s71, v33                                // 00000000427C: 6A464247
	v_add_u32_e32 v34, 1, v32                                  // 000000004280: 68444081
	v_cmp_le_u32_e32 vcc, s44, v35                             // 000000004284: 7D96462C
	v_subrev_u32_e32 v33, s44, v35                             // 000000004288: 6C42462C
	s_nop 0                                                    // 00000000428C: BF800000
	v_cndmask_b32_e32 v32, v32, v34, vcc                       // 000000004290: 00404520
	v_cndmask_b32_e32 v35, v35, v33, vcc                       // 000000004294: 00464323
	v_add_u32_e32 v33, 1, v32                                  // 000000004298: 68424081
	v_cmp_le_u32_e32 vcc, s44, v35                             // 00000000429C: 7D96462C
	s_nop 1                                                    // 0000000042A0: BF800001
	v_cndmask_b32_e32 v35, v32, v33, vcc                       // 0000000042A4: 00464320
	s_nop 3                                                    // 0000000042A8: BF800003
	v_readfirstlane_b32 s45, v35                               // 0000000042AC: 7E5A0523
	s_nop 3                                                    // 0000000042B0: BF800003
	s_mul_i32 s61, s45, s80                                    // 0000000042B4: 923D502D
	s_mov_b32 s54, s61                                         // 0000000042B8: BEB6003D
	s_add_u32 s12, s54, s12                                    // 0000000042BC: 800C0C36
	s_addc_u32 s13, 0, s13                                     // 0000000042C0: 820D0D80
	s_mul_i32 s60, s4, s81                                     // 0000000042C4: 923C5104
	s_mul_hi_u32 s61, s4, s81                                  // 0000000042C8: 963D5104
	s_and_b32 s61, s61, 0xffff                                 // 0000000042CC: 863DFF3D 0000FFFF
	s_add_u32 s12, s12, s60                                    // 0000000042D4: 800C3C0C
	s_addc_u32 s13, s13, s61                                   // 0000000042D8: 820D3D0D
	s_mul_i32 s61, s45, s90                                    // 0000000042DC: 923D5A2D
	s_mov_b32 s54, s61                                         // 0000000042E0: BEB6003D
	s_add_u32 s16, s54, s16                                    // 0000000042E4: 80101036
	s_addc_u32 s17, 0, s17                                     // 0000000042E8: 82111180
	s_mul_i32 s60, s4, s91                                     // 0000000042EC: 923C5B04
	s_mul_hi_u32 s61, s4, s91                                  // 0000000042F0: 963D5B04
	s_and_b32 s61, s61, 0xffff                                 // 0000000042F4: 863DFF3D 0000FFFF
	s_add_u32 s16, s16, s60                                    // 0000000042FC: 80103C10
	s_addc_u32 s17, s17, s61                                   // 000000004300: 82113D11
	s_mul_i32 s61, s3, s78                                     // 000000004304: 923D4E03
	s_mov_b32 s55, s61                                         // 000000004308: BEB7003D
	s_add_u32 s8, s55, s8                                      // 00000000430C: 80080837
	s_addc_u32 s9, 0, s9                                       // 000000004310: 82090980
	s_mul_i32 s60, s4, s79                                     // 000000004314: 923C4F04
	s_mul_hi_u32 s61, s4, s79                                  // 000000004318: 963D4F04
	s_and_b32 s61, s61, 0xffff                                 // 00000000431C: 863DFF3D 0000FFFF
	s_add_u32 s8, s8, s60                                      // 000000004324: 80083C08
	s_addc_u32 s9, s9, s61                                     // 000000004328: 82093D09
	s_mul_i32 s61, s3, s92                                     // 00000000432C: 923D5C03
	s_mov_b32 s56, s61                                         // 000000004330: BEB8003D
	s_add_u32 s20, s56, s20                                    // 000000004334: 80141438
	s_addc_u32 s21, 0, s21                                     // 000000004338: 82151580
	s_mul_i32 s60, s4, s93                                     // 00000000433C: 923C5D04
	s_mul_hi_u32 s61, s4, s93                                  // 000000004340: 963D5D04
	s_and_b32 s61, s61, 0xffff                                 // 000000004344: 863DFF3D 0000FFFF
	s_add_u32 s20, s20, s60                                    // 00000000434C: 80143C14
	s_addc_u32 s21, s21, s61                                   // 000000004350: 82153D15
	s_mul_i32 s62, s4, s100                                    // 000000004354: 923E6404
	s_mul_i32 s62, s62, s49                                    // 000000004358: 923E313E
	s_lshl_b32 s62, s62, 2                                     // 00000000435C: 8E3E823E
	s_mul_i32 s61, s3, s49                                     // 000000004360: 923D3103
	s_mul_i32 s61, 4, s61                                      // 000000004364: 923D3D84
	s_add_u32 s65, s61, s62                                    // 000000004368: 80413E3D
	s_mov_b32 s26, s49                                         // 00000000436C: BE9A0031
	s_mov_b32 s30, s49                                         // 000000004370: BE9E0031
	s_add_u32 s24, s65, s24                                    // 000000004374: 80181841
	s_addc_u32 s25, 0, s25                                     // 000000004378: 82191980
	s_add_u32 s28, s65, s28                                    // 00000000437C: 801C1C41
	s_addc_u32 s29, 0, s29                                     // 000000004380: 821D1D80
	s_mul_i32 s61, s3, s94                                     // 000000004384: 923D5E03
	s_mul_i32 s62, s4, s95                                     // 000000004388: 923E5F04
	s_add_u32 s60, s61, s62                                    // 00000000438C: 803C3E3D
	s_mul_hi_u32 s61, s4, s95                                  // 000000004390: 963D5F04
	s_and_b32 s61, s61, 0xffff                                 // 000000004394: 863DFF3D 0000FFFF
	s_add_u32 s36, s60, s36                                    // 00000000439C: 8024243C
	s_addc_u32 s37, s61, s37                                   // 0000000043A0: 8225253D
	s_mul_i32 s60, s50, s52                                    // 0000000043A4: 923C3432
	s_lshr_b32 s60, s60, 2                                     // 0000000043A8: 8F3C823C
	s_mov_b32 s38, s60                                         // 0000000043AC: BEA6003C
	s_mul_i32 s61, s3, s96                                     // 0000000043B0: 923D6003
	s_mul_i32 s62, s4, s97                                     // 0000000043B4: 923E6104
	s_add_u32 s60, s61, s62                                    // 0000000043B8: 803C3E3D
	s_mul_hi_u32 s61, s4, s97                                  // 0000000043BC: 963D6104
	s_and_b32 s61, s61, 0xffff                                 // 0000000043C0: 863DFF3D 0000FFFF
	s_add_u32 s40, s60, s40                                    // 0000000043C8: 8028283C
	s_addc_u32 s41, s61, s41                                   // 0000000043CC: 8229293D
	s_mul_i32 s60, s50, s53                                    // 0000000043D0: 923C3532
	s_lshr_b32 s60, s60, 2                                     // 0000000043D4: 8F3C823C
	s_mov_b32 s42, s60                                         // 0000000043D8: BEAA003C
	s_mul_i32 s60, 64, s65                                     // 0000000043DC: 923C41C0
	s_mul_hi_u32 s61, 64, s65                                  // 0000000043E0: 963D41C0
	s_and_b32 s61, s61, 0xffff                                 // 0000000043E4: 863DFF3D 0000FFFF
	s_add_u32 s32, s60, s32                                    // 0000000043EC: 8020203C
	s_addc_u32 s33, s61, s33                                   // 0000000043F0: 8221213D
	s_mul_i32 s60, 64, s49                                     // 0000000043F4: 923C31C0
	s_mov_b32 s34, s60                                         // 0000000043F8: BEA2003C
	s_mov_b32 s82, s8                                          // 0000000043FC: BED20008
	s_mov_b32 s84, s12                                         // 000000004400: BED4000C
	s_mov_b32 s86, s16                                         // 000000004404: BED60010
	s_mov_b32 s88, s20                                         // 000000004408: BED80014
	s_mov_b32 s83, s9                                          // 00000000440C: BED30009
	s_mov_b32 s85, s13                                         // 000000004410: BED5000D
	s_mov_b32 s87, s17                                         // 000000004414: BED70011
	s_mov_b32 s89, s21                                         // 000000004418: BED90015
	s_add_u32 s71, 0xbf, s50                                   // 00000000441C: 804732FF 000000BF
	s_mov_b32 s74, 0xc0                                        // 000000004424: BECA00FF 000000C0
	v_cvt_f32_u32_e32 v32, s74                                 // 00000000442C: 7E400C4A
	s_sub_i32 s60, 0, s74                                      // 000000004430: 81BC4A80
	v_rcp_iflag_f32_e32 v32, v32                               // 000000004434: 7E404720
	s_nop 0                                                    // 000000004438: BF800000
	v_mul_f32_e32 v32, 0x4f7ffffe, v32                         // 00000000443C: 0A4040FF 4F7FFFFE
	v_cvt_u32_f32_e32 v32, v32                                 // 000000004444: 7E400F20
	v_mul_lo_u32 v33, s60, v32                                 // 000000004448: D2850021 0002403C
	v_mul_hi_u32 v33, v32, v33                                 // 000000004450: D2860021 00024320
	v_add_u32_e32 v32, v32, v33                                // 000000004458: 68404320
	v_mul_hi_u32 v32, s71, v32                                 // 00000000445C: D2860020 00024047
	v_mul_lo_u32 v33, v32, s74                                 // 000000004464: D2850021 00009520
	v_sub_u32_e32 v35, s71, v33                                // 00000000446C: 6A464247
	v_add_u32_e32 v34, 1, v32                                  // 000000004470: 68444081
	v_cmp_le_u32_e32 vcc, s74, v35                             // 000000004474: 7D96464A
	v_subrev_u32_e32 v33, s74, v35                             // 000000004478: 6C42464A
	s_nop 0                                                    // 00000000447C: BF800000
	v_cndmask_b32_e32 v32, v32, v34, vcc                       // 000000004480: 00404520
	v_cndmask_b32_e32 v35, v35, v33, vcc                       // 000000004484: 00464323
	v_add_u32_e32 v33, 1, v32                                  // 000000004488: 68424081
	v_cmp_le_u32_e32 vcc, s74, v35                             // 00000000448C: 7D96464A
	s_nop 1                                                    // 000000004490: BF800001
	v_cndmask_b32_e32 v35, v32, v33, vcc                       // 000000004494: 00464320
	s_nop 3                                                    // 000000004498: BF800003
	v_readfirstlane_b32 s77, v35                               // 00000000449C: 7E9A0523
	s_nop 3                                                    // 0000000044A0: BF800003
	v_mov_b32_e32 v32, s47                                     // 0000000044A4: 7E40022F
	v_mul_f32_e32 v32, s48, v32                                // 0000000044A8: 0A404030
	s_mov_b32 s58, s49                                         // 0000000044AC: BEBA0031
	s_mov_b32 s59, 0                                           // 0000000044B0: BEBB0080
	s_mov_b32 s63, 0x5040100                                   // 0000000044B4: BEBF00FF 05040100
	s_mov_b32 s64, 0x7060302                                   // 0000000044BC: BEC000FF 07060302
	v_readfirstlane_b32 s57, v32                               // 0000000044C4: 7E720520
	v_mov_b32_e32 v34, 0x3020706                               // 0000000044C8: 7E4402FF 03020706
	v_mov_b32_e32 v32, s63                                     // 0000000044D0: 7E40023F
	v_and_b32_e32 v33, 1, v0                                   // 0000000044D4: 26420081
	v_cmp_eq_u32_e32 vcc, 1, v33                               // 0000000044D8: 7D944281
	s_mov_b32 s67, 0x800                                       // 0000000044DC: BEC300FF 00000800
	s_nop 0                                                    // 0000000044E4: BF800000
	v_cndmask_b32_e32 v17, v32, v34, vcc                       // 0000000044E8: 00224520
	v_mov_b32_e32 v229, 0xffff0000                             // 0000000044EC: 7FCA02FF FFFF0000
	v_mov_b32_e32 v230, 0x7fff0000                             // 0000000044F4: 7FCC02FF 7FFF0000
	v_mov_b32_e32 v231, 0x7fff                                 // 0000000044FC: 7FCE02FF 00007FFF
	s_cmp_lt_u32 s46, 2                                        // 000000004504: BF0A822E
	s_cselect_b32 s24, s24, s28                                // 000000004508: 85181C18
	s_cselect_b32 s25, s25, s29                                // 00000000450C: 85191D19
	s_cselect_b32 s26, s26, s30                                // 000000004510: 851A1E1A
	s_cselect_b32 s27, s27, s31                                // 000000004514: 851B1F1B
	s_lshr_b32 s60, s46, 1                                     // 000000004518: 8F3C812E
	s_lshl_b32 s60, s60, 8                                     // 00000000451C: 8E3C883C
	s_add_u32 s80, 0x9a00, s60                                 // 000000004520: 80503CFF 00009A00
	s_add_u32 s81, 0x200, s80                                  // 000000004528: 805150FF 00000200
	s_mov_b32 m0, s80                                          // 000000004530: BEFC0050
	s_mov_b32 s75, 0                                           // 000000004534: BECB0080
	s_mov_b32 s76, 1                                           // 000000004538: BECC0081
	s_lshl_b32 s60, s2, 1                                      // 00000000453C: 8E3C8102
	s_add_u32 s60, 1, s60                                      // 000000004540: 803C3C81
	s_cmp_ge_i32 s60, s77                                      // 000000004544: BF034D3C
	s_cselect_b32 s76, s76, 2                                  // 000000004548: 854C824C

000000000000454c <label_0153>:
	s_mov_b32 m0, s80                                          // 00000000454C: BEFC0050
	s_mov_b32 s66, 0                                           // 000000004550: BEC20080
	v_mov_b32_e32 v178, 0xff800000                             // 000000004554: 7F6402FF FF800000
	s_mov_b32 s74, 0                                           // 00000000455C: BECA0080
	s_mul_i32 s68, 8, s5                                       // 000000004560: 92440588
	s_mul_i32 s99, 8, s51                                      // 000000004564: 92633388
	s_mov_b32 s69, 32                                          // 000000004568: BEC500A0
	s_mul_i32 s95, 0xc0, s2                                    // 00000000456C: 925F02FF 000000C0
	s_sub_i32 s60, s50, s49                                    // 000000004574: 81BC3132
	s_sub_i32 s71, s95, s60                                    // 000000004578: 81C73C5F
	s_cmp_ge_i32 s71, 0                                        // 00000000457C: BF038047
	s_cselect_b32 s59, s71, 0                                  // 000000004580: 853B8047
	s_add_i32 s60, s71, 0xc0                                   // 000000004584: 813CFF47 000000C0
	s_cmp_le_i32 s60, 0                                        // 00000000458C: BF05803C
	s_cbranch_scc0 label_0167                                  // 000000004590: BF840002
	s_mov_b32 s94, 0                                           // 000000004594: BEDE0080
	s_branch label_0173                                        // 000000004598: BF82000C

000000000000459c <label_0167>:
	s_mov_b32 s94, 1                                           // 00000000459C: BEDE0081
	s_sub_i32 s60, s59, s71                                    // 0000000045A0: 81BC473B
	v_lshrrev_b32_e32 v32, 4, v0                               // 0000000045A4: 20400084
	v_mul_i32_i24_e32 v32, 4, v32                              // 0000000045A8: 0C404084
	v_add_i32 v32, v32, s60                                    // 0000000045AC: D29C0020 00007920
	v_and_b32_e32 v33, 15, v0                                  // 0000000045B4: 2642008F
	v_mul_i32_i24_e64 v34, s46, 16                             // 0000000045B8: D1060022 0001202E
	v_add_u32_e32 v33, v33, v34                                // 0000000045C0: 68424521
	v_sub_i32 v236, v33, v32                                   // 0000000045C4: D29D00EC 00024121

00000000000045cc <label_0173>:
	s_mul_i32 s54, s6, s95                                     // 0000000045CC: 92365F06
	s_sub_i32 s61, s50, s95                                    // 0000000045D0: 81BD5F32
	s_mul_i32 s62, s6, s61                                     // 0000000045D4: 923E3D06
	s_lshr_b32 s62, s62, 2                                     // 0000000045D8: 8F3E823E
	s_mov_b32 s14, s62                                         // 0000000045DC: BE8E003E
	s_add_u32 s12, s54, s84                                    // 0000000045E0: 800C5436
	s_addc_u32 s13, 0, s85                                     // 0000000045E4: 820D5580
	s_mul_i32 s54, s7, s95                                     // 0000000045E8: 92365F07
	s_mul_i32 s62, s7, s61                                     // 0000000045EC: 923E3D07
	s_lshr_b32 s62, s62, 2                                     // 0000000045F0: 8F3E823E
	s_mov_b32 s18, s62                                         // 0000000045F4: BE92003E
	s_add_u32 s16, s54, s86                                    // 0000000045F8: 80105636
	s_addc_u32 s17, 0, s87                                     // 0000000045FC: 82115780
	s_mov_b32 s71, s6                                          // 000000004600: BEC70006
	v_lshrrev_b32_e32 v32, 4, v0                               // 000000004604: 20400084
	v_and_b32_e32 v33, 1, v32                                  // 000000004608: 26424081
	v_lshlrev_b32_e32 v33, 1, v33                              // 00000000460C: 24424281
	v_mul_i32_i24_e32 v33, s71, v33                            // 000000004610: 0C424247
	v_and_b32_e32 v34, 2, v32                                  // 000000004614: 26444082
	v_lshlrev_b32_e32 v34, 5, v34                              // 000000004618: 24444485
	v_add_u32_e32 v33, v34, v33                                // 00000000461C: 68424322
	v_and_b32_e32 v32, 15, v0                                  // 000000004620: 2640008F
	v_lshlrev_b32_e32 v32, 2, v32                              // 000000004624: 24404082
	v_add_u32_e32 v1, v32, v33                                 // 000000004628: 68024320
	s_mul_i32 s60, s46, s71                                    // 00000000462C: 923C472E
	s_mul_i32 s60, s60, 4                                      // 000000004630: 923C843C
	v_add_u32_e32 v1, s60, v1                                  // 000000004634: 6802023C
	v_add_u32_e32 v2, s71, v1                                  // 000000004638: 68040247
	s_mul_i32 s60, 16, s71                                     // 00000000463C: 923C4790
	v_add_u32_e32 v3, s60, v1                                  // 000000004640: 6806023C
	v_add_u32_e32 v4, s60, v2                                  // 000000004644: 6808043C
	s_mov_b32 s71, s7                                          // 000000004648: BEC70007
	v_lshrrev_b32_e32 v32, 4, v0                               // 00000000464C: 20400084
	v_and_b32_e32 v33, 1, v32                                  // 000000004650: 26424081
	v_lshlrev_b32_e32 v33, 1, v33                              // 000000004654: 24424281
	v_mul_i32_i24_e32 v33, s71, v33                            // 000000004658: 0C424247
	v_and_b32_e32 v34, 2, v32                                  // 00000000465C: 26444082
	v_lshlrev_b32_e32 v34, 5, v34                              // 000000004660: 24444485
	v_add_u32_e32 v33, v34, v33                                // 000000004664: 68424322
	v_and_b32_e32 v32, 15, v0                                  // 000000004668: 2640008F
	v_lshlrev_b32_e32 v32, 2, v32                              // 00000000466C: 24404082
	v_add_u32_e32 v232, v32, v33                               // 000000004670: 69D04320
	s_mul_i32 s60, s46, s71                                    // 000000004674: 923C472E
	s_mul_i32 s60, s60, 4                                      // 000000004678: 923C843C
	v_add_u32_e32 v232, s60, v232                              // 00000000467C: 69D1D03C
	v_add_u32_e32 v233, s71, v232                              // 000000004680: 69D3D047
	s_mul_i32 s60, 16, s71                                     // 000000004684: 923C4790
	v_add_u32_e32 v234, s60, v232                              // 000000004688: 69D5D03C
	v_add_u32_e32 v235, s60, v233                              // 00000000468C: 69D7D23C
	v_lshrrev_b32_e32 v1, 2, v1                                // 000000004690: 20020282
	v_lshrrev_b32_e32 v2, 2, v2                                // 000000004694: 20040482
	v_lshrrev_b32_e32 v232, 2, v232                            // 000000004698: 21D1D082
	v_lshrrev_b32_e32 v233, 2, v233                            // 00000000469C: 21D3D282
	s_mov_b32 s70, s52                                         // 0000000046A0: BEC60034
	v_lshrrev_b32_e32 v32, 3, v0                               // 0000000046A4: 20400083
	v_mul_i32_i24_e32 v5, s70, v32                             // 0000000046A8: 0C0A4046
	v_lshrrev_b32_e32 v5, 2, v5                                // 0000000046AC: 200A0A82
	v_and_b32_e32 v32, 7, v0                                   // 0000000046B0: 26400087
	v_lshlrev_b32_e32 v33, 2, v32                              // 0000000046B4: 24424082
	v_add_u32_e32 v5, v33, v5                                  // 0000000046B8: 680A0B21
	s_mul_i32 s60, 16, s70                                     // 0000000046BC: 923C4690
	s_mul_i32 s60, s46, s60                                    // 0000000046C0: 923C3C2E
	v_lshlrev_b32_e32 v5, 2, v5                                // 0000000046C4: 240A0A82
	v_add_u32_e32 v5, s60, v5                                  // 0000000046C8: 680A0A3C
	s_mul_i32 s60, s52, s95                                    // 0000000046CC: 923C5F34
	v_add_u32_e32 v5, s60, v5                                  // 0000000046D0: 680A0A3C
	v_lshrrev_b32_e32 v5, 2, v5                                // 0000000046D4: 200A0A82
	s_mov_b32 s70, s53                                         // 0000000046D8: BEC60035
	v_lshrrev_b32_e32 v32, 3, v0                               // 0000000046DC: 20400083
	v_mul_i32_i24_e32 v10, s70, v32                            // 0000000046E0: 0C144046
	v_lshrrev_b32_e32 v10, 2, v10                              // 0000000046E4: 20141482
	v_and_b32_e32 v32, 7, v0                                   // 0000000046E8: 26400087
	v_lshlrev_b32_e32 v33, 2, v32                              // 0000000046EC: 24424082
	v_add_u32_e32 v10, v33, v10                                // 0000000046F0: 68141521
	s_mul_i32 s60, 16, s70                                     // 0000000046F4: 923C4690
	s_mul_i32 s60, s46, s60                                    // 0000000046F8: 923C3C2E
	v_lshlrev_b32_e32 v10, 2, v10                              // 0000000046FC: 24141482
	v_add_u32_e32 v10, s60, v10                                // 000000004700: 6814143C
	s_mul_i32 s60, s53, s95                                    // 000000004704: 923C5F35
	v_add_u32_e32 v10, s60, v10                                // 000000004708: 6814143C
	v_lshrrev_b32_e32 v10, 2, v10                              // 00000000470C: 20141482
	s_cmp_ge_i32 s59, s49                                      // 000000004710: BF03313B
	s_cselect_b32 s59, s49, s59                                // 000000004714: 853B3B31
	s_add_u32 s73, 32, s59                                     // 000000004718: 80493BA0
	s_mul_i32 s55, s5, s59                                     // 00000000471C: 92373B05
	s_sub_i32 s61, s49, s59                                    // 000000004720: 81BD3B31
	s_mul_i32 s62, s5, s61                                     // 000000004724: 923E3D05
	s_lshr_b32 s62, s62, 2                                     // 000000004728: 8F3E823E
	s_mov_b32 s10, s62                                         // 00000000472C: BE8A003E
	s_add_u32 s8, s55, s82                                     // 000000004730: 80085237
	s_addc_u32 s9, 0, s83                                      // 000000004734: 82095380
	s_mul_i32 s56, s51, s59                                    // 000000004738: 92383B33
	s_mul_i32 s62, s51, s61                                    // 00000000473C: 923E3D33
	s_lshr_b32 s62, s62, 2                                     // 000000004740: 8F3E823E
	s_mov_b32 s22, s62                                         // 000000004744: BE96003E
	s_add_u32 s20, s56, s88                                    // 000000004748: 80145838
	s_addc_u32 s21, 0, s89                                     // 00000000474C: 82155980
	s_mul_i32 s65, s59, 4                                      // 000000004750: 9241843B
	v_and_b32_e32 v11, 31, v0                                  // 000000004754: 2616009F
	v_lshlrev_b32_e32 v11, 2, v11                              // 000000004758: 24161682
	v_add_u32_e32 v11, s65, v11                                // 00000000475C: 68161641
	v_lshrrev_b32_e32 v11, 2, v11                              // 000000004760: 20161682
	v_lshrrev_b32_e32 v32, 5, v0                               // 000000004764: 20400085
	v_mul_i32_i24_e32 v6, 0x80, v32                            // 000000004768: 0C0C40FF 00000080
	v_and_b32_e32 v32, 31, v0                                  // 000000004770: 2640009F
	v_add_u32_e32 v6, v32, v6                                  // 000000004774: 680C0D20
	s_mul_i32 s60, s46, 0x100                                  // 000000004778: 923CFF2E 00000100
	v_add_u32_e32 v6, s60, v6                                  // 000000004780: 680C0C3C
	v_lshlrev_b32_e32 v6, 2, v6                                // 000000004784: 240C0C82
	v_add_u32_e32 v7, 0x100, v6                                // 000000004788: 680E0CFF 00000100
	v_add_u32_e32 v8, 0x1000, v6                               // 000000004790: 68100CFF 00001000
	v_add_u32_e32 v9, 0x1000, v7                               // 000000004798: 68120EFF 00001000
	s_mul_i32 s60, 64, s65                                     // 0000000047A0: 923C41C0
	v_add_u32_e32 v6, s60, v6                                  // 0000000047A4: 680C0C3C
	v_lshrrev_b32_e32 v6, 2, v6                                // 0000000047A8: 200C0C82
	v_add_u32_e32 v7, s60, v7                                  // 0000000047AC: 680E0E3C
	v_lshrrev_b32_e32 v7, 2, v7                                // 0000000047B0: 200E0E82
	v_add_u32_e32 v8, s60, v8                                  // 0000000047B4: 6810103C
	v_lshrrev_b32_e32 v8, 2, v8                                // 0000000047B8: 20101082
	v_add_u32_e32 v9, s60, v9                                  // 0000000047BC: 6812123C
	v_lshrrev_b32_e32 v9, 2, v9                                // 0000000047C0: 20121282
	s_mul_i32 s60, 3, s2                                       // 0000000047C4: 923C0283
	s_add_u32 s61, s50, 63                                     // 0000000047C8: 803DBF32
	s_lshr_b32 s61, s61, 6                                     // 0000000047CC: 8F3D863D
	s_sub_i32 s72, s61, s60                                    // 0000000047D0: 81C83C3D
	s_cmp_lt_i32 s72, 3                                        // 0000000047D4: BF048348
	s_cselect_b32 s72, s72, 3                                  // 0000000047D8: 85488348
	s_mul_i32 s60, 0xc0, s2                                    // 0000000047DC: 923C02FF 000000C0
	s_sub_i32 s101, s50, s60                                   // 0000000047E4: 81E53C32
	v_and_b32_e32 v32, 31, v0                                  // 0000000047E8: 2640009F
	v_lshrrev_b32_e32 v32, 1, v32                              // 0000000047EC: 20404081
	v_and_b32_e32 v33, 1, v32                                  // 0000000047F0: 26424081
	v_lshlrev_b32_e32 v33, 4, v33                              // 0000000047F4: 24424284
	v_and_b32_e32 v34, 2, v32                                  // 0000000047F8: 26444082
	v_lshlrev_b32_e32 v34, 2, v34                              // 0000000047FC: 24444482
	v_add_u32_e32 v33, v34, v33                                // 000000004800: 68424322
	v_and_b32_e32 v34, 12, v32                                 // 000000004804: 2644408C
	v_lshrrev_b32_e32 v34, 1, v34                              // 000000004808: 20444481
	v_add_u32_e32 v33, v34, v33                                // 00000000480C: 68424322
	v_lshrrev_b32_e32 v32, 5, v0                               // 000000004810: 20400085
	v_mul_i32_i24_e32 v34, 0x80, v32                           // 000000004814: 0C4440FF 00000080
	v_add_u32_e32 v33, v34, v33                                // 00000000481C: 68424322
	v_and_b32_e32 v34, 1, v0                                   // 000000004820: 26440081
	v_add_u32_e32 v13, v34, v33                                // 000000004824: 681A4322
	s_mul_i32 s60, s46, 32                                     // 000000004828: 923CA02E
	v_add_u32_e32 v13, s60, v13                                // 00000000482C: 681A1A3C
	v_lshlrev_b32_e32 v13, 2, v13                              // 000000004830: 241A1A82
	v_lshrrev_b32_e32 v32, 4, v0                               // 000000004834: 20400084
	v_and_b32_e32 v33, 1, v32                                  // 000000004838: 26424081
	v_lshlrev_b32_e32 v33, 4, v33                              // 00000000483C: 24424284
	v_and_b32_e32 v34, 2, v32                                  // 000000004840: 26444082
	v_mul_i32_i24_e32 v34, 4, v34                              // 000000004844: 0C444484
	v_add_u32_e32 v33, v34, v33                                // 000000004848: 68424322
	v_and_b32_e32 v32, 15, v0                                  // 00000000484C: 2640008F
	v_lshrrev_b32_e32 v34, 2, v32                              // 000000004850: 20444082
	v_lshlrev_b32_e32 v34, 5, v34                              // 000000004854: 24444485
	v_add_u32_e32 v33, v34, v33                                // 000000004858: 68424322
	v_and_b32_e32 v32, 3, v0                                   // 00000000485C: 26400083
	v_and_b32_e32 v34, 1, v32                                  // 000000004860: 26444081
	v_mul_i32_i24_e32 v34, 0x108, v34                          // 000000004864: 0C4444FF 00000108
	v_add_u32_e32 v33, v34, v33                                // 00000000486C: 68424322
	v_and_b32_e32 v34, 2, v32                                  // 000000004870: 26444082
	v_lshlrev_b32_e32 v34, 1, v34                              // 000000004874: 24444481
	v_add_u32_e32 v12, v34, v33                                // 000000004878: 68184322
	v_lshlrev_b32_e32 v12, 2, v12                              // 00000000487C: 24181882
	s_mul_i32 s60, s46, 0x880                                  // 000000004880: 923CFF2E 00000880
	v_add_u32_e32 v24, s60, v12                                // 000000004888: 6830183C
	v_lshrrev_b32_e32 v32, 5, v0                               // 00000000488C: 20400085
	v_mul_i32_i24_e32 v15, 0x80, v32                           // 000000004890: 0C1E40FF 00000080
	v_and_b32_e32 v32, 31, v0                                  // 000000004898: 2640009F
	v_and_b32_e32 v33, 7, v32                                  // 00000000489C: 26424087
	v_and_b32_e32 v34, 1, v33                                  // 0000000048A0: 26444281
	v_lshlrev_b32_e32 v34, 2, v34                              // 0000000048A4: 24444482
	v_add_u32_e32 v15, v34, v15                                // 0000000048A8: 681E1F22
	v_and_b32_e32 v34, 2, v33                                  // 0000000048AC: 26444282
	v_lshlrev_b32_e32 v34, 3, v34                              // 0000000048B0: 24444483
	v_add_u32_e32 v15, v34, v15                                // 0000000048B4: 681E1F22
	v_and_b32_e32 v34, 4, v33                                  // 0000000048B8: 26444284
	v_lshlrev_b32_e32 v34, 1, v34                              // 0000000048BC: 24444481
	v_add_u32_e32 v15, v34, v15                                // 0000000048C0: 681E1F22
	v_lshrrev_b32_e32 v33, 3, v32                              // 0000000048C4: 20424083
	v_and_b32_e32 v34, 1, v33                                  // 0000000048C8: 26444281
	v_lshlrev_b32_e32 v34, 1, v34                              // 0000000048CC: 24444481
	v_add_u32_e32 v15, v34, v15                                // 0000000048D0: 681E1F22
	v_and_b32_e32 v34, 2, v33                                  // 0000000048D4: 26444282
	v_lshrrev_b32_e32 v34, 1, v34                              // 0000000048D8: 20444481
	v_add_u32_e32 v15, v34, v15                                // 0000000048DC: 681E1F22
	s_mul_i32 s60, s46, 32                                     // 0000000048E0: 923CA02E
	v_add_u32_e32 v15, s60, v15                                // 0000000048E4: 681E1E3C
	v_lshlrev_b32_e32 v15, 2, v15                              // 0000000048E8: 241E1E82
	v_and_b32_e32 v32, 15, v0                                  // 0000000048EC: 2640008F
	v_and_b32_e32 v34, 1, v32                                  // 0000000048F0: 26444081
	v_mul_i32_i24_e32 v14, 0x108, v34                          // 0000000048F4: 0C1C44FF 00000108
	v_and_b32_e32 v34, 2, v32                                  // 0000000048FC: 26444082
	v_lshlrev_b32_e32 v34, 1, v34                              // 000000004900: 24444481
	v_add_u32_e32 v14, v34, v14                                // 000000004904: 681C1D22
	v_and_b32_e32 v34, 4, v32                                  // 000000004908: 26444084
	v_lshlrev_b32_e32 v34, 2, v34                              // 00000000490C: 24444482
	v_add_u32_e32 v14, v34, v14                                // 000000004910: 681C1D22
	v_and_b32_e32 v34, 8, v32                                  // 000000004914: 26444088
	v_add_u32_e32 v14, v34, v14                                // 000000004918: 681C1D22
	v_lshrrev_b32_e32 v32, 4, v0                               // 00000000491C: 20400084
	v_and_b32_e32 v34, 1, v32                                  // 000000004920: 26444081
	v_lshlrev_b32_e32 v34, 5, v34                              // 000000004924: 24444485
	v_add_u32_e32 v14, v34, v14                                // 000000004928: 681C1D22
	v_and_b32_e32 v33, 2, v32                                  // 00000000492C: 26424082
	v_mul_i32_i24_e32 v34, 32, v33                             // 000000004930: 0C4442A0
	v_mul_i32_i24_e32 v33, 0x110, v33                          // 000000004934: 0C4242FF 00000110
	v_add_u32_e32 v25, v33, v14                                // 00000000493C: 68321D21
	v_add_u32_e32 v14, v34, v14                                // 000000004940: 681C1D22
	v_lshlrev_b32_e32 v14, 2, v14                              // 000000004944: 241C1C82
	v_lshlrev_b32_e32 v25, 2, v25                              // 000000004948: 24323282
	s_and_b32 s60, 1, s46                                      // 00000000494C: 863C2E81
	s_mul_i32 s60, s60, 0x200                                  // 000000004950: 923CFF3C 00000200
	v_add_u32_e32 v25, s60, v25                                // 000000004958: 6832323C
	v_lshrrev_b32_e32 v32, 4, v0                               // 00000000495C: 20400084
	v_mul_i32_i24_e32 v23, 4, v32                              // 000000004960: 0C2E4084
	v_and_b32_e32 v33, 3, v0                                   // 000000004964: 26420083
	v_add_u32_e32 v23, v33, v23                                // 000000004968: 682E2F21
	v_lshlrev_b32_e32 v23, 2, v23                              // 00000000496C: 242E2E82
	v_lshrrev_b32_e32 v32, 4, v0                               // 000000004970: 20400084
	v_and_b32_e32 v33, 1, v32                                  // 000000004974: 26424081
	v_mul_i32_i24_e32 v21, 0x100, v33                          // 000000004978: 0C2A42FF 00000100
	v_and_b32_e32 v33, 2, v32                                  // 000000004980: 26424082
	v_mul_i32_i24_e32 v33, 64, v33                             // 000000004984: 0C4242C0
	v_add_u32_e32 v21, v33, v21                                // 000000004988: 682A2B21
	v_and_b32_e32 v32, 15, v0                                  // 00000000498C: 2640008F
	v_mul_i32_i24_e32 v33, 2, v32                              // 000000004990: 0C424082
	v_add_u32_e32 v21, v33, v21                                // 000000004994: 682A2B21
	s_mul_i32 s60, s46, 32                                     // 000000004998: 923CA02E
	v_add_u32_e32 v21, s60, v21                                // 00000000499C: 682A2A3C
	v_lshlrev_b32_e32 v21, 2, v21                              // 0000000049A0: 242A2A82
	v_lshlrev_b32_e32 v22, 1, v0                               // 0000000049A4: 242C0081
	s_mul_i32 s60, s46, 0x200                                  // 0000000049A8: 923CFF2E 00000200
	v_add_u32_e32 v22, s60, v22                                // 0000000049B0: 682C2C3C
	v_lshlrev_b32_e32 v22, 2, v22                              // 0000000049B4: 242C2C82
	v_lshrrev_b32_e32 v32, 5, v0                               // 0000000049B8: 20400085
	v_mul_i32_i24_e32 v19, 64, v32                             // 0000000049BC: 0C2640C0
	v_and_b32_e32 v32, 31, v0                                  // 0000000049C0: 2640009F
	v_and_b32_e32 v32, 3, v32                                  // 0000000049C4: 26404083
	v_and_b32_e32 v33, 1, v32                                  // 0000000049C8: 26424081
	v_mul_i32_i24_e32 v33, 4, v33                              // 0000000049CC: 0C424284
	v_add_u32_e32 v19, v33, v19                                // 0000000049D0: 68262721
	v_and_b32_e32 v33, 2, v32                                  // 0000000049D4: 26424082
	v_mul_i32_i24_e32 v33, 0x44, v33                           // 0000000049D8: 0C4242FF 00000044
	v_add_u32_e32 v19, v33, v19                                // 0000000049E0: 68262721
	v_and_b32_e32 v32, 31, v0                                  // 0000000049E4: 2640009F
	v_lshrrev_b32_e32 v32, 2, v32                              // 0000000049E8: 20404082
	v_lshrrev_b32_e32 v34, 2, v32                              // 0000000049EC: 20444082
	v_mul_i32_i24_e32 v33, 16, v34                             // 0000000049F0: 0C424490
	v_add_u32_e32 v19, v33, v19                                // 0000000049F4: 68262721
	v_and_b32_e32 v33, 2, v32                                  // 0000000049F8: 26424082
	v_lshlrev_b32_e32 v33, 4, v33                              // 0000000049FC: 24424284
	v_add_u32_e32 v19, v33, v19                                // 000000004A00: 68262721
	v_and_b32_e32 v33, 1, v32                                  // 000000004A04: 26424081
	v_xor_b32_e32 v33, v34, v33                                // 000000004A08: 2A424322
	v_mul_i32_i24_e32 v33, 8, v33                              // 000000004A0C: 0C424288
	v_add_u32_e32 v19, v33, v19                                // 000000004A10: 68262721
	s_lshr_b32 s60, s46, 1                                     // 000000004A14: 8F3C812E
	s_mul_i32 s60, s60, 0x6c0                                  // 000000004A18: 923CFF3C 000006C0
	v_add_u32_e32 v19, s60, v19                                // 000000004A20: 6826263C
	v_lshlrev_b32_e32 v19, 2, v19                              // 000000004A24: 24262682
	v_lshrrev_b32_e32 v32, 5, v0                               // 000000004A28: 20400085
	v_mul_i32_i24_e32 v20, 32, v32                             // 000000004A2C: 0C2840A0
	v_and_b32_e32 v32, 31, v0                                  // 000000004A30: 2640009F
	v_and_b32_e32 v32, 3, v32                                  // 000000004A34: 26404083
	v_and_b32_e32 v33, 1, v32                                  // 000000004A38: 26424081
	v_mul_i32_i24_e32 v33, 4, v33                              // 000000004A3C: 0C424284
	v_add_u32_e32 v20, v33, v20                                // 000000004A40: 68282921
	v_and_b32_e32 v33, 2, v32                                  // 000000004A44: 26424082
	v_lshrrev_b32_e32 v33, 1, v33                              // 000000004A48: 20424281
	v_add_u32_e32 v20, v33, v20                                // 000000004A4C: 68282921
	v_and_b32_e32 v32, 31, v0                                  // 000000004A50: 2640009F
	v_lshrrev_b32_e32 v32, 2, v32                              // 000000004A54: 20404082
	v_and_b32_e32 v34, 1, v32                                  // 000000004A58: 26444081
	v_mul_i32_i24_e32 v33, 16, v34                             // 000000004A5C: 0C424490
	v_add_u32_e32 v20, v33, v20                                // 000000004A60: 68282921
	v_and_b32_e32 v33, 2, v32                                  // 000000004A64: 26424082
	v_add_u32_e32 v20, v33, v20                                // 000000004A68: 68282921
	v_lshrrev_b32_e32 v33, 2, v32                              // 000000004A6C: 20424082
	v_xor_b32_e32 v33, v34, v33                                // 000000004A70: 2A424322
	v_mul_i32_i24_e32 v33, 8, v33                              // 000000004A74: 0C424288
	v_add_u32_e32 v20, v33, v20                                // 000000004A78: 68282921
	s_and_b32 s60, 1, s46                                      // 000000004A7C: 863C2E81
	s_mul_i32 s60, s60, 64                                     // 000000004A80: 923CC03C
	s_lshr_b32 s61, s46, 1                                     // 000000004A84: 8F3D812E
	s_mul_i32 s61, s61, 0x120                                  // 000000004A88: 923DFF3D 00000120
	s_add_u32 s60, s60, s61                                    // 000000004A90: 803C3D3C
	v_add_u32_e32 v20, s60, v20                                // 000000004A94: 6828283C
	v_lshlrev_b32_e32 v20, 2, v20                              // 000000004A98: 24282882
	buffer_load_dword v180, v1, s[12:15], 0 idxen              // 000000004A9C: E0502000 8003B401
	buffer_load_dword v181, v2, s[12:15], 0 idxen              // 000000004AA4: E0502000 8003B502
	s_mul_i32 s60, 4, s6                                       // 000000004AAC: 923C0684
	s_cmp_lt_i32 0, s72                                        // 000000004AB0: BF044880
	s_cselect_b32 s60, s60, 0                                  // 000000004AB4: 853C803C
	v_add_u32_e32 v1, s60, v1                                  // 000000004AB8: 6802023C
	v_add_u32_e32 v2, s60, v2                                  // 000000004ABC: 6804043C
	buffer_load_dword v182, v1, s[12:15], 0 idxen              // 000000004AC0: E0502000 8003B601
	buffer_load_dword v183, v2, s[12:15], 0 idxen              // 000000004AC8: E0502000 8003B702
	s_mul_i32 s60, 4, s6                                       // 000000004AD0: 923C0684
	s_cmp_lt_i32 0, s72                                        // 000000004AD4: BF044880
	s_cselect_b32 s60, s60, 0                                  // 000000004AD8: 853C803C
	v_add_u32_e32 v1, s60, v1                                  // 000000004ADC: 6802023C
	v_add_u32_e32 v2, s60, v2                                  // 000000004AE0: 6804043C
	buffer_load_dword v184, v1, s[12:15], 0 idxen              // 000000004AE4: E0502000 8003B801
	buffer_load_dword v185, v2, s[12:15], 0 idxen              // 000000004AEC: E0502000 8003B902
	s_mul_i32 s60, 4, s6                                       // 000000004AF4: 923C0684
	s_cmp_lt_i32 0, s72                                        // 000000004AF8: BF044880
	s_cselect_b32 s60, s60, 0                                  // 000000004AFC: 853C803C
	v_add_u32_e32 v1, s60, v1                                  // 000000004B00: 6802023C
	v_add_u32_e32 v2, s60, v2                                  // 000000004B04: 6804043C
	buffer_load_dword v186, v1, s[12:15], 0 idxen              // 000000004B08: E0502000 8003BA01
	buffer_load_dword v187, v2, s[12:15], 0 idxen              // 000000004B10: E0502000 8003BB02
	s_mul_i32 s60, 4, s6                                       // 000000004B18: 923C0684
	s_cmp_lt_i32 1, s72                                        // 000000004B1C: BF044881
	s_cselect_b32 s60, s60, 0                                  // 000000004B20: 853C803C
	v_add_u32_e32 v1, s60, v1                                  // 000000004B24: 6802023C
	v_add_u32_e32 v2, s60, v2                                  // 000000004B28: 6804043C
	buffer_load_dword v188, v1, s[12:15], 0 idxen              // 000000004B2C: E0502000 8003BC01
	buffer_load_dword v189, v2, s[12:15], 0 idxen              // 000000004B34: E0502000 8003BD02
	s_mul_i32 s60, 4, s6                                       // 000000004B3C: 923C0684
	s_cmp_lt_i32 1, s72                                        // 000000004B40: BF044881
	s_cselect_b32 s60, s60, 0                                  // 000000004B44: 853C803C
	v_add_u32_e32 v1, s60, v1                                  // 000000004B48: 6802023C
	v_add_u32_e32 v2, s60, v2                                  // 000000004B4C: 6804043C
	buffer_load_dword v190, v1, s[12:15], 0 idxen              // 000000004B50: E0502000 8003BE01
	buffer_load_dword v191, v2, s[12:15], 0 idxen              // 000000004B58: E0502000 8003BF02
	s_mul_i32 s60, 4, s6                                       // 000000004B60: 923C0684
	s_cmp_lt_i32 1, s72                                        // 000000004B64: BF044881
	s_cselect_b32 s60, s60, 0                                  // 000000004B68: 853C803C
	v_add_u32_e32 v1, s60, v1                                  // 000000004B6C: 6802023C
	v_add_u32_e32 v2, s60, v2                                  // 000000004B70: 6804043C
	buffer_load_dword v192, v1, s[12:15], 0 idxen              // 000000004B74: E0502000 8003C001
	buffer_load_dword v193, v2, s[12:15], 0 idxen              // 000000004B7C: E0502000 8003C102
	s_mul_i32 s60, 4, s6                                       // 000000004B84: 923C0684
	s_cmp_lt_i32 1, s72                                        // 000000004B88: BF044881
	s_cselect_b32 s60, s60, 0                                  // 000000004B8C: 853C803C
	v_add_u32_e32 v1, s60, v1                                  // 000000004B90: 6802023C
	v_add_u32_e32 v2, s60, v2                                  // 000000004B94: 6804043C
	buffer_load_dword v194, v1, s[12:15], 0 idxen              // 000000004B98: E0502000 8003C201
	buffer_load_dword v195, v2, s[12:15], 0 idxen              // 000000004BA0: E0502000 8003C302
	s_mul_i32 s60, 4, s6                                       // 000000004BA8: 923C0684
	s_cmp_lt_i32 2, s72                                        // 000000004BAC: BF044882
	s_cselect_b32 s60, s60, 0                                  // 000000004BB0: 853C803C
	v_add_u32_e32 v1, s60, v1                                  // 000000004BB4: 6802023C
	v_add_u32_e32 v2, s60, v2                                  // 000000004BB8: 6804043C
	buffer_load_dword v196, v1, s[12:15], 0 idxen              // 000000004BBC: E0502000 8003C401
	buffer_load_dword v197, v2, s[12:15], 0 idxen              // 000000004BC4: E0502000 8003C502
	s_mul_i32 s60, 4, s6                                       // 000000004BCC: 923C0684
	s_cmp_lt_i32 2, s72                                        // 000000004BD0: BF044882
	s_cselect_b32 s60, s60, 0                                  // 000000004BD4: 853C803C
	v_add_u32_e32 v1, s60, v1                                  // 000000004BD8: 6802023C
	v_add_u32_e32 v2, s60, v2                                  // 000000004BDC: 6804043C
	buffer_load_dword v198, v1, s[12:15], 0 idxen              // 000000004BE0: E0502000 8003C601
	buffer_load_dword v199, v2, s[12:15], 0 idxen              // 000000004BE8: E0502000 8003C702
	s_mul_i32 s60, 4, s6                                       // 000000004BF0: 923C0684
	s_cmp_lt_i32 2, s72                                        // 000000004BF4: BF044882
	s_cselect_b32 s60, s60, 0                                  // 000000004BF8: 853C803C
	v_add_u32_e32 v1, s60, v1                                  // 000000004BFC: 6802023C
	v_add_u32_e32 v2, s60, v2                                  // 000000004C00: 6804043C
	buffer_load_dword v200, v1, s[12:15], 0 idxen              // 000000004C04: E0502000 8003C801
	buffer_load_dword v201, v2, s[12:15], 0 idxen              // 000000004C0C: E0502000 8003C902
	s_mul_i32 s60, 4, s6                                       // 000000004C14: 923C0684
	s_cmp_lt_i32 2, s72                                        // 000000004C18: BF044882
	s_cselect_b32 s60, s60, 0                                  // 000000004C1C: 853C803C
	v_add_u32_e32 v1, s60, v1                                  // 000000004C20: 6802023C
	v_add_u32_e32 v2, s60, v2                                  // 000000004C24: 6804043C
	buffer_load_dword v202, v1, s[12:15], 0 idxen              // 000000004C28: E0502000 8003CA01
	buffer_load_dword v203, v2, s[12:15], 0 idxen              // 000000004C30: E0502000 8003CB02
	s_mul_i32 s60, 4, s6                                       // 000000004C38: 923C0684
	s_cmp_lt_i32 3, s72                                        // 000000004C3C: BF044883
	s_cselect_b32 s60, s60, 0                                  // 000000004C40: 853C803C
	v_add_u32_e32 v1, s60, v1                                  // 000000004C44: 6802023C
	v_add_u32_e32 v2, s60, v2                                  // 000000004C48: 6804043C
	s_waitcnt vmcnt(16) lgkmcnt(0)                             // 000000004C4C: BF8C4070
	s_barrier                                                  // 000000004C50: BF8A0000
	s_cmp_lt_i32 0, s72                                        // 000000004C54: BF044880
	s_cbranch_scc1 label_031F                                  // 000000004C58: BF850008
	v_mov_b32_e32 v180, 0                                      // 000000004C5C: 7F680280
	v_mov_b32_e32 v181, 0                                      // 000000004C60: 7F6A0280
	v_mov_b32_e32 v182, 0                                      // 000000004C64: 7F6C0280
	v_mov_b32_e32 v183, 0                                      // 000000004C68: 7F6E0280
	v_mov_b32_e32 v184, 0                                      // 000000004C6C: 7F700280
	v_mov_b32_e32 v185, 0                                      // 000000004C70: 7F720280
	v_mov_b32_e32 v186, 0                                      // 000000004C74: 7F740280
	v_mov_b32_e32 v187, 0                                      // 000000004C78: 7F760280

0000000000004c7c <label_031F>:
	v_perm_b32 v204, v181, v180, s63                           // 000000004C7C: D1ED00CC 00FF69B5
	v_perm_b32 v205, v181, v180, s64                           // 000000004C84: D1ED00CD 010369B5
	v_perm_b32 v206, v183, v182, s63                           // 000000004C8C: D1ED00CE 00FF6DB7
	v_perm_b32 v207, v183, v182, s64                           // 000000004C94: D1ED00CF 01036DB7
	v_perm_b32 v208, v185, v184, s63                           // 000000004C9C: D1ED00D0 00FF71B9
	v_perm_b32 v209, v185, v184, s64                           // 000000004CA4: D1ED00D1 010371B9
	v_perm_b32 v210, v187, v186, s63                           // 000000004CAC: D1ED00D2 00FF75BB
	v_perm_b32 v211, v187, v186, s64                           // 000000004CB4: D1ED00D3 010375BB
	ds_write_b32 v15, v204 offset:8704                         // 000000004CBC: D81A2200 0000CC0F
	ds_write_b32 v15, v205 offset:9760                         // 000000004CC4: D81A2620 0000CD0F
	ds_write_b32 v15, v206 offset:10880                        // 000000004CCC: D81A2A80 0000CE0F
	ds_write_b32 v15, v207 offset:11936                        // 000000004CD4: D81A2EA0 0000CF0F
	ds_write_b32 v15, v208 offset:13056                        // 000000004CDC: D81A3300 0000D00F
	ds_write_b32 v15, v209 offset:14112                        // 000000004CE4: D81A3720 0000D10F
	ds_write_b32 v15, v210 offset:15232                        // 000000004CEC: D81A3B80 0000D20F
	ds_write_b32 v15, v211 offset:16288                        // 000000004CF4: D81A3FA0 0000D30F
	ds_write_b32 v13, v180                                     // 000000004CFC: D81A0000 0000B40D
	ds_write_b32 v13, v181 offset:1056                         // 000000004D04: D81A0420 0000B50D
	ds_write_b32 v13, v182 offset:2176                         // 000000004D0C: D81A0880 0000B60D
	ds_write_b32 v13, v183 offset:3232                         // 000000004D14: D81A0CA0 0000B70D
	ds_write_b32 v13, v184 offset:4352                         // 000000004D1C: D81A1100 0000B80D
	ds_write_b32 v13, v185 offset:5408                         // 000000004D24: D81A1520 0000B90D
	ds_write_b32 v13, v186 offset:6528                         // 000000004D2C: D81A1980 0000BA0D
	ds_write_b32 v13, v187 offset:7584                         // 000000004D34: D81A1DA0 0000BB0D
	buffer_load_dword v180, v232, s[16:19], 0 idxen            // 000000004D3C: E0502000 8004B4E8
	buffer_load_dword v181, v233, s[16:19], 0 idxen            // 000000004D44: E0502000 8004B5E9
	s_mul_i32 s60, 4, s7                                       // 000000004D4C: 923C0784
	s_cmp_lt_i32 0, s72                                        // 000000004D50: BF044880
	s_cselect_b32 s60, s60, 0                                  // 000000004D54: 853C803C
	v_add_u32_e32 v232, s60, v232                              // 000000004D58: 69D1D03C
	v_add_u32_e32 v233, s60, v233                              // 000000004D5C: 69D3D23C
	buffer_load_dword v182, v232, s[16:19], 0 idxen            // 000000004D60: E0502000 8004B6E8
	buffer_load_dword v183, v233, s[16:19], 0 idxen            // 000000004D68: E0502000 8004B7E9
	s_mul_i32 s60, 4, s7                                       // 000000004D70: 923C0784
	s_cmp_lt_i32 0, s72                                        // 000000004D74: BF044880
	s_cselect_b32 s60, s60, 0                                  // 000000004D78: 853C803C
	v_add_u32_e32 v232, s60, v232                              // 000000004D7C: 69D1D03C
	v_add_u32_e32 v233, s60, v233                              // 000000004D80: 69D3D23C
	buffer_load_dword v184, v232, s[16:19], 0 idxen            // 000000004D84: E0502000 8004B8E8
	buffer_load_dword v185, v233, s[16:19], 0 idxen            // 000000004D8C: E0502000 8004B9E9
	s_mul_i32 s60, 4, s7                                       // 000000004D94: 923C0784
	s_cmp_lt_i32 0, s72                                        // 000000004D98: BF044880
	s_cselect_b32 s60, s60, 0                                  // 000000004D9C: 853C803C
	v_add_u32_e32 v232, s60, v232                              // 000000004DA0: 69D1D03C
	v_add_u32_e32 v233, s60, v233                              // 000000004DA4: 69D3D23C
	buffer_load_dword v186, v232, s[16:19], 0 idxen            // 000000004DA8: E0502000 8004BAE8
	buffer_load_dword v187, v233, s[16:19], 0 idxen            // 000000004DB0: E0502000 8004BBE9
	s_mul_i32 s60, 4, s7                                       // 000000004DB8: 923C0784
	s_cmp_lt_i32 1, s72                                        // 000000004DBC: BF044881
	s_cselect_b32 s60, s60, 0                                  // 000000004DC0: 853C803C
	v_add_u32_e32 v232, s60, v232                              // 000000004DC4: 69D1D03C
	v_add_u32_e32 v233, s60, v233                              // 000000004DC8: 69D3D23C
	s_waitcnt lgkmcnt(0)                                       // 000000004DCC: BF8CC07F
	s_barrier                                                  // 000000004DD0: BF8A0000
	ds_read_b128 a[24:27], v25 offset:8704                     // 000000004DD4: DBFE2200 18000019
	ds_read_b128 a[28:31], v25 offset:8960                     // 000000004DDC: DBFE2300 1C000019
	ds_read_b128 a[32:35], v25 offset:13056                    // 000000004DE4: DBFE3300 20000019
	ds_read_b128 a[36:39], v25 offset:13312                    // 000000004DEC: DBFE3400 24000019
	ds_read_b128 a[0:3], v24                                   // 000000004DF4: DBFE0000 00000018
	ds_read_b128 a[4:7], v24 offset:512                        // 000000004DFC: DBFE0200 04000018
	s_waitcnt vmcnt(16) lgkmcnt(0)                             // 000000004E04: BF8C4070
	s_barrier                                                  // 000000004E08: BF8A0000
	s_cmp_lt_i32 1, s72                                        // 000000004E0C: BF044881
	s_cbranch_scc1 label_038D                                  // 000000004E10: BF850008
	v_mov_b32_e32 v188, 0                                      // 000000004E14: 7F780280
	v_mov_b32_e32 v189, 0                                      // 000000004E18: 7F7A0280
	v_mov_b32_e32 v190, 0                                      // 000000004E1C: 7F7C0280
	v_mov_b32_e32 v191, 0                                      // 000000004E20: 7F7E0280
	v_mov_b32_e32 v192, 0                                      // 000000004E24: 7F800280
	v_mov_b32_e32 v193, 0                                      // 000000004E28: 7F820280
	v_mov_b32_e32 v194, 0                                      // 000000004E2C: 7F840280
	v_mov_b32_e32 v195, 0                                      // 000000004E30: 7F860280

0000000000004e34 <label_038D>:
	v_perm_b32 v204, v189, v188, s63                           // 000000004E34: D1ED00CC 00FF79BD
	v_perm_b32 v205, v189, v188, s64                           // 000000004E3C: D1ED00CD 010379BD
	v_perm_b32 v206, v191, v190, s63                           // 000000004E44: D1ED00CE 00FF7DBF
	v_perm_b32 v207, v191, v190, s64                           // 000000004E4C: D1ED00CF 01037DBF
	v_perm_b32 v208, v193, v192, s63                           // 000000004E54: D1ED00D0 00FF81C1
	v_perm_b32 v209, v193, v192, s64                           // 000000004E5C: D1ED00D1 010381C1
	v_perm_b32 v210, v195, v194, s63                           // 000000004E64: D1ED00D2 00FF85C3
	v_perm_b32 v211, v195, v194, s64                           // 000000004E6C: D1ED00D3 010385C3
	ds_write_b32 v15, v204 offset:8704                         // 000000004E74: D81A2200 0000CC0F
	ds_write_b32 v15, v205 offset:9760                         // 000000004E7C: D81A2620 0000CD0F
	ds_write_b32 v15, v206 offset:10880                        // 000000004E84: D81A2A80 0000CE0F
	ds_write_b32 v15, v207 offset:11936                        // 000000004E8C: D81A2EA0 0000CF0F
	ds_write_b32 v15, v208 offset:13056                        // 000000004E94: D81A3300 0000D00F
	ds_write_b32 v15, v209 offset:14112                        // 000000004E9C: D81A3720 0000D10F
	ds_write_b32 v15, v210 offset:15232                        // 000000004EA4: D81A3B80 0000D20F
	ds_write_b32 v15, v211 offset:16288                        // 000000004EAC: D81A3FA0 0000D30F
	ds_write_b32 v13, v188                                     // 000000004EB4: D81A0000 0000BC0D
	ds_write_b32 v13, v189 offset:1056                         // 000000004EBC: D81A0420 0000BD0D
	ds_write_b32 v13, v190 offset:2176                         // 000000004EC4: D81A0880 0000BE0D
	ds_write_b32 v13, v191 offset:3232                         // 000000004ECC: D81A0CA0 0000BF0D
	ds_write_b32 v13, v192 offset:4352                         // 000000004ED4: D81A1100 0000C00D
	ds_write_b32 v13, v193 offset:5408                         // 000000004EDC: D81A1520 0000C10D
	ds_write_b32 v13, v194 offset:6528                         // 000000004EE4: D81A1980 0000C20D
	ds_write_b32 v13, v195 offset:7584                         // 000000004EEC: D81A1DA0 0000C30D
	buffer_load_dword v188, v232, s[16:19], 0 idxen            // 000000004EF4: E0502000 8004BCE8
	buffer_load_dword v189, v233, s[16:19], 0 idxen            // 000000004EFC: E0502000 8004BDE9
	s_mul_i32 s60, 4, s7                                       // 000000004F04: 923C0784
	s_cmp_lt_i32 1, s72                                        // 000000004F08: BF044881
	s_cselect_b32 s60, s60, 0                                  // 000000004F0C: 853C803C
	v_add_u32_e32 v232, s60, v232                              // 000000004F10: 69D1D03C
	v_add_u32_e32 v233, s60, v233                              // 000000004F14: 69D3D23C
	buffer_load_dword v190, v232, s[16:19], 0 idxen            // 000000004F18: E0502000 8004BEE8
	buffer_load_dword v191, v233, s[16:19], 0 idxen            // 000000004F20: E0502000 8004BFE9
	s_mul_i32 s60, 4, s7                                       // 000000004F28: 923C0784
	s_cmp_lt_i32 1, s72                                        // 000000004F2C: BF044881
	s_cselect_b32 s60, s60, 0                                  // 000000004F30: 853C803C
	v_add_u32_e32 v232, s60, v232                              // 000000004F34: 69D1D03C
	v_add_u32_e32 v233, s60, v233                              // 000000004F38: 69D3D23C
	buffer_load_dword v192, v232, s[16:19], 0 idxen            // 000000004F3C: E0502000 8004C0E8
	buffer_load_dword v193, v233, s[16:19], 0 idxen            // 000000004F44: E0502000 8004C1E9
	s_mul_i32 s60, 4, s7                                       // 000000004F4C: 923C0784
	s_cmp_lt_i32 1, s72                                        // 000000004F50: BF044881
	s_cselect_b32 s60, s60, 0                                  // 000000004F54: 853C803C
	v_add_u32_e32 v232, s60, v232                              // 000000004F58: 69D1D03C
	v_add_u32_e32 v233, s60, v233                              // 000000004F5C: 69D3D23C
	buffer_load_dword v194, v232, s[16:19], 0 idxen            // 000000004F60: E0502000 8004C2E8
	buffer_load_dword v195, v233, s[16:19], 0 idxen            // 000000004F68: E0502000 8004C3E9
	s_mul_i32 s60, 4, s7                                       // 000000004F70: 923C0784
	s_cmp_lt_i32 2, s72                                        // 000000004F74: BF044882
	s_cselect_b32 s60, s60, 0                                  // 000000004F78: 853C803C
	v_add_u32_e32 v232, s60, v232                              // 000000004F7C: 69D1D03C
	v_add_u32_e32 v233, s60, v233                              // 000000004F80: 69D3D23C
	s_waitcnt lgkmcnt(0)                                       // 000000004F84: BF8CC07F
	s_barrier                                                  // 000000004F88: BF8A0000
	ds_read_b128 a[40:43], v25 offset:8704                     // 000000004F8C: DBFE2200 28000019
	ds_read_b128 a[44:47], v25 offset:8960                     // 000000004F94: DBFE2300 2C000019
	ds_read_b128 a[48:51], v25 offset:13056                    // 000000004F9C: DBFE3300 30000019
	ds_read_b128 a[52:55], v25 offset:13312                    // 000000004FA4: DBFE3400 34000019
	ds_read_b128 a[8:11], v24                                  // 000000004FAC: DBFE0000 08000018
	ds_read_b128 a[12:15], v24 offset:512                      // 000000004FB4: DBFE0200 0C000018
	s_waitcnt vmcnt(16) lgkmcnt(0)                             // 000000004FBC: BF8C4070
	s_barrier                                                  // 000000004FC0: BF8A0000
	s_cmp_lt_i32 2, s72                                        // 000000004FC4: BF044882
	s_cbranch_scc1 label_03FB                                  // 000000004FC8: BF850008
	v_mov_b32_e32 v196, 0                                      // 000000004FCC: 7F880280
	v_mov_b32_e32 v197, 0                                      // 000000004FD0: 7F8A0280
	v_mov_b32_e32 v198, 0                                      // 000000004FD4: 7F8C0280
	v_mov_b32_e32 v199, 0                                      // 000000004FD8: 7F8E0280
	v_mov_b32_e32 v200, 0                                      // 000000004FDC: 7F900280
	v_mov_b32_e32 v201, 0                                      // 000000004FE0: 7F920280
	v_mov_b32_e32 v202, 0                                      // 000000004FE4: 7F940280
	v_mov_b32_e32 v203, 0                                      // 000000004FE8: 7F960280

0000000000004fec <label_03FB>:
	v_perm_b32 v204, v197, v196, s63                           // 000000004FEC: D1ED00CC 00FF89C5
	v_perm_b32 v205, v197, v196, s64                           // 000000004FF4: D1ED00CD 010389C5
	v_perm_b32 v206, v199, v198, s63                           // 000000004FFC: D1ED00CE 00FF8DC7
	v_perm_b32 v207, v199, v198, s64                           // 000000005004: D1ED00CF 01038DC7
	v_perm_b32 v208, v201, v200, s63                           // 00000000500C: D1ED00D0 00FF91C9
	v_perm_b32 v209, v201, v200, s64                           // 000000005014: D1ED00D1 010391C9
	v_perm_b32 v210, v203, v202, s63                           // 00000000501C: D1ED00D2 00FF95CB
	v_perm_b32 v211, v203, v202, s64                           // 000000005024: D1ED00D3 010395CB
	ds_write_b32 v15, v204 offset:8704                         // 00000000502C: D81A2200 0000CC0F
	ds_write_b32 v15, v205 offset:9760                         // 000000005034: D81A2620 0000CD0F
	ds_write_b32 v15, v206 offset:10880                        // 00000000503C: D81A2A80 0000CE0F
	ds_write_b32 v15, v207 offset:11936                        // 000000005044: D81A2EA0 0000CF0F
	ds_write_b32 v15, v208 offset:13056                        // 00000000504C: D81A3300 0000D00F
	ds_write_b32 v15, v209 offset:14112                        // 000000005054: D81A3720 0000D10F
	ds_write_b32 v15, v210 offset:15232                        // 00000000505C: D81A3B80 0000D20F
	ds_write_b32 v15, v211 offset:16288                        // 000000005064: D81A3FA0 0000D30F
	ds_write_b32 v13, v196                                     // 00000000506C: D81A0000 0000C40D
	ds_write_b32 v13, v197 offset:1056                         // 000000005074: D81A0420 0000C50D
	ds_write_b32 v13, v198 offset:2176                         // 00000000507C: D81A0880 0000C60D
	ds_write_b32 v13, v199 offset:3232                         // 000000005084: D81A0CA0 0000C70D
	ds_write_b32 v13, v200 offset:4352                         // 00000000508C: D81A1100 0000C80D
	ds_write_b32 v13, v201 offset:5408                         // 000000005094: D81A1520 0000C90D
	ds_write_b32 v13, v202 offset:6528                         // 00000000509C: D81A1980 0000CA0D
	ds_write_b32 v13, v203 offset:7584                         // 0000000050A4: D81A1DA0 0000CB0D
	buffer_load_dword v196, v232, s[16:19], 0 idxen            // 0000000050AC: E0502000 8004C4E8
	buffer_load_dword v197, v233, s[16:19], 0 idxen            // 0000000050B4: E0502000 8004C5E9
	s_mul_i32 s60, 4, s7                                       // 0000000050BC: 923C0784
	s_cmp_lt_i32 2, s72                                        // 0000000050C0: BF044882
	s_cselect_b32 s60, s60, 0                                  // 0000000050C4: 853C803C
	v_add_u32_e32 v232, s60, v232                              // 0000000050C8: 69D1D03C
	v_add_u32_e32 v233, s60, v233                              // 0000000050CC: 69D3D23C
	buffer_load_dword v198, v232, s[16:19], 0 idxen            // 0000000050D0: E0502000 8004C6E8
	buffer_load_dword v199, v233, s[16:19], 0 idxen            // 0000000050D8: E0502000 8004C7E9
	s_mul_i32 s60, 4, s7                                       // 0000000050E0: 923C0784
	s_cmp_lt_i32 2, s72                                        // 0000000050E4: BF044882
	s_cselect_b32 s60, s60, 0                                  // 0000000050E8: 853C803C
	v_add_u32_e32 v232, s60, v232                              // 0000000050EC: 69D1D03C
	v_add_u32_e32 v233, s60, v233                              // 0000000050F0: 69D3D23C
	buffer_load_dword v200, v232, s[16:19], 0 idxen            // 0000000050F4: E0502000 8004C8E8
	buffer_load_dword v201, v233, s[16:19], 0 idxen            // 0000000050FC: E0502000 8004C9E9
	s_mul_i32 s60, 4, s7                                       // 000000005104: 923C0784
	s_cmp_lt_i32 2, s72                                        // 000000005108: BF044882
	s_cselect_b32 s60, s60, 0                                  // 00000000510C: 853C803C
	v_add_u32_e32 v232, s60, v232                              // 000000005110: 69D1D03C
	v_add_u32_e32 v233, s60, v233                              // 000000005114: 69D3D23C
	buffer_load_dword v202, v232, s[16:19], 0 idxen            // 000000005118: E0502000 8004CAE8
	buffer_load_dword v203, v233, s[16:19], 0 idxen            // 000000005120: E0502000 8004CBE9
	s_mul_i32 s60, 4, s7                                       // 000000005128: 923C0784
	s_cmp_lt_i32 3, s72                                        // 00000000512C: BF044883
	s_cselect_b32 s60, s60, 0                                  // 000000005130: 853C803C
	v_add_u32_e32 v232, s60, v232                              // 000000005134: 69D1D03C
	v_add_u32_e32 v233, s60, v233                              // 000000005138: 69D3D23C
	s_waitcnt lgkmcnt(0)                                       // 00000000513C: BF8CC07F
	s_barrier                                                  // 000000005140: BF8A0000
	ds_read_b128 a[56:59], v25 offset:8704                     // 000000005144: DBFE2200 38000019
	ds_read_b128 a[60:63], v25 offset:8960                     // 00000000514C: DBFE2300 3C000019
	ds_read_b128 a[64:67], v25 offset:13056                    // 000000005154: DBFE3300 40000019
	ds_read_b128 a[68:71], v25 offset:13312                    // 00000000515C: DBFE3400 44000019
	ds_read_b128 a[16:19], v24                                 // 000000005164: DBFE0000 10000018
	ds_read_b128 a[20:23], v24 offset:512                      // 00000000516C: DBFE0200 14000018
	s_waitcnt vmcnt(16) lgkmcnt(0)                             // 000000005174: BF8C4070
	s_barrier                                                  // 000000005178: BF8A0000
	s_cmp_lt_i32 0, s72                                        // 00000000517C: BF044880
	s_cbranch_scc1 label_0469                                  // 000000005180: BF850008
	v_mov_b32_e32 v180, 0                                      // 000000005184: 7F680280
	v_mov_b32_e32 v181, 0                                      // 000000005188: 7F6A0280
	v_mov_b32_e32 v182, 0                                      // 00000000518C: 7F6C0280
	v_mov_b32_e32 v183, 0                                      // 000000005190: 7F6E0280
	v_mov_b32_e32 v184, 0                                      // 000000005194: 7F700280
	v_mov_b32_e32 v185, 0                                      // 000000005198: 7F720280
	v_mov_b32_e32 v186, 0                                      // 00000000519C: 7F740280
	v_mov_b32_e32 v187, 0                                      // 0000000051A0: 7F760280

00000000000051a4 <label_0469>:
	ds_write_b32 v13, v180                                     // 0000000051A4: D81A0000 0000B40D
	ds_write_b32 v13, v181 offset:1056                         // 0000000051AC: D81A0420 0000B50D
	ds_write_b32 v13, v182 offset:2176                         // 0000000051B4: D81A0880 0000B60D
	ds_write_b32 v13, v183 offset:3232                         // 0000000051BC: D81A0CA0 0000B70D
	ds_write_b32 v13, v184 offset:4352                         // 0000000051C4: D81A1100 0000B80D
	ds_write_b32 v13, v185 offset:5408                         // 0000000051CC: D81A1520 0000B90D
	ds_write_b32 v13, v186 offset:6528                         // 0000000051D4: D81A1980 0000BA0D
	ds_write_b32 v13, v187 offset:7584                         // 0000000051DC: D81A1DA0 0000BB0D
	s_mov_b32 s71, s5                                          // 0000000051E4: BEC70005
	v_lshrrev_b32_e32 v32, 4, v0                               // 0000000051E8: 20400084
	v_and_b32_e32 v33, 1, v32                                  // 0000000051EC: 26424081
	v_lshlrev_b32_e32 v33, 1, v33                              // 0000000051F0: 24424281
	v_mul_i32_i24_e32 v33, s71, v33                            // 0000000051F4: 0C424247
	v_and_b32_e32 v34, 2, v32                                  // 0000000051F8: 26444082
	v_lshlrev_b32_e32 v34, 5, v34                              // 0000000051FC: 24444485
	v_add_u32_e32 v33, v34, v33                                // 000000005200: 68424322
	v_and_b32_e32 v32, 15, v0                                  // 000000005204: 2640008F
	v_lshlrev_b32_e32 v32, 2, v32                              // 000000005208: 24404082
	v_add_u32_e32 v1, v32, v33                                 // 00000000520C: 68024320
	s_mul_i32 s60, s46, s71                                    // 000000005210: 923C472E
	s_mul_i32 s60, s60, 4                                      // 000000005214: 923C843C
	v_add_u32_e32 v1, s60, v1                                  // 000000005218: 6802023C
	v_add_u32_e32 v2, s71, v1                                  // 00000000521C: 68040247
	s_mul_i32 s60, 16, s71                                     // 000000005220: 923C4790
	v_add_u32_e32 v3, s60, v1                                  // 000000005224: 6806023C
	v_add_u32_e32 v4, s60, v2                                  // 000000005228: 6808043C
	s_mov_b32 s71, s51                                         // 00000000522C: BEC70033
	v_lshrrev_b32_e32 v32, 4, v0                               // 000000005230: 20400084
	v_and_b32_e32 v33, 1, v32                                  // 000000005234: 26424081
	v_lshlrev_b32_e32 v33, 1, v33                              // 000000005238: 24424281
	v_mul_i32_i24_e32 v33, s71, v33                            // 00000000523C: 0C424247
	v_and_b32_e32 v34, 2, v32                                  // 000000005240: 26444082
	v_lshlrev_b32_e32 v34, 5, v34                              // 000000005244: 24444485
	v_add_u32_e32 v33, v34, v33                                // 000000005248: 68424322
	v_and_b32_e32 v32, 15, v0                                  // 00000000524C: 2640008F
	v_lshlrev_b32_e32 v32, 2, v32                              // 000000005250: 24404082
	v_add_u32_e32 v232, v32, v33                               // 000000005254: 69D04320
	s_mul_i32 s60, s46, s71                                    // 000000005258: 923C472E
	s_mul_i32 s60, s60, 4                                      // 00000000525C: 923C843C
	v_add_u32_e32 v232, s60, v232                              // 000000005260: 69D1D03C
	v_add_u32_e32 v233, s71, v232                              // 000000005264: 69D3D047
	s_mul_i32 s60, 16, s71                                     // 000000005268: 923C4790
	v_add_u32_e32 v234, s60, v232                              // 00000000526C: 69D5D03C
	v_add_u32_e32 v235, s60, v233                              // 000000005270: 69D7D23C
	v_lshrrev_b32_e32 v1, 2, v1                                // 000000005274: 20020282
	v_lshrrev_b32_e32 v2, 2, v2                                // 000000005278: 20040482
	v_lshrrev_b32_e32 v3, 2, v3                                // 00000000527C: 20060682
	v_lshrrev_b32_e32 v4, 2, v4                                // 000000005280: 20080882
	v_lshrrev_b32_e32 v232, 2, v232                            // 000000005284: 21D1D082
	v_lshrrev_b32_e32 v233, 2, v233                            // 000000005288: 21D3D282
	v_lshrrev_b32_e32 v234, 2, v234                            // 00000000528C: 21D5D482
	v_lshrrev_b32_e32 v235, 2, v235                            // 000000005290: 21D7D682
	buffer_load_dword v36, v1, s[8:11], 0 idxen                // 000000005294: E0502000 80022401
	buffer_load_dword v37, v2, s[8:11], 0 idxen                // 00000000529C: E0502000 80022502
	buffer_load_dword v38, v3, s[8:11], 0 idxen                // 0000000052A4: E0502000 80022603
	buffer_load_dword v39, v4, s[8:11], 0 idxen                // 0000000052AC: E0502000 80022704
	buffer_load_dword v44, v232, s[20:23], 0 idxen             // 0000000052B4: E0502000 80052CE8
	buffer_load_dword v45, v233, s[20:23], 0 idxen             // 0000000052BC: E0502000 80052DE9
	buffer_load_dword v46, v234, s[20:23], 0 idxen             // 0000000052C4: E0502000 80052EEA
	buffer_load_dword v47, v235, s[20:23], 0 idxen             // 0000000052CC: E0502000 80052FEB
	s_waitcnt lgkmcnt(0)                                       // 0000000052D4: BF8CC07F
	s_barrier                                                  // 0000000052D8: BF8A0000
	ds_read_b128 a[72:75], v24                                 // 0000000052DC: DBFE0000 48000018
	ds_read_b128 a[76:79], v24 offset:512                      // 0000000052E4: DBFE0200 4C000018
	v_add_u32_e32 v1, s68, v1                                  // 0000000052EC: 68020244
	v_add_u32_e32 v2, s68, v2                                  // 0000000052F0: 68040444
	v_add_u32_e32 v3, s68, v3                                  // 0000000052F4: 68060644
	v_add_u32_e32 v4, s68, v4                                  // 0000000052F8: 68080844
	v_add_u32_e32 v232, s99, v232                              // 0000000052FC: 69D1D063
	v_add_u32_e32 v233, s99, v233                              // 000000005300: 69D3D263
	v_add_u32_e32 v234, s99, v234                              // 000000005304: 69D5D463
	v_add_u32_e32 v235, s99, v235                              // 000000005308: 69D7D663
	s_waitcnt vmcnt(16) lgkmcnt(0)                             // 00000000530C: BF8C4070
	s_barrier                                                  // 000000005310: BF8A0000
	s_cmp_lt_i32 1, s72                                        // 000000005314: BF044881
	s_cbranch_scc1 label_04CF                                  // 000000005318: BF850008
	v_mov_b32_e32 v188, 0                                      // 00000000531C: 7F780280
	v_mov_b32_e32 v189, 0                                      // 000000005320: 7F7A0280
	v_mov_b32_e32 v190, 0                                      // 000000005324: 7F7C0280
	v_mov_b32_e32 v191, 0                                      // 000000005328: 7F7E0280
	v_mov_b32_e32 v192, 0                                      // 00000000532C: 7F800280
	v_mov_b32_e32 v193, 0                                      // 000000005330: 7F820280
	v_mov_b32_e32 v194, 0                                      // 000000005334: 7F840280
	v_mov_b32_e32 v195, 0                                      // 000000005338: 7F860280

000000000000533c <label_04CF>:
	ds_write_b32 v13, v188                                     // 00000000533C: D81A0000 0000BC0D
	ds_write_b32 v13, v189 offset:1056                         // 000000005344: D81A0420 0000BD0D
	ds_write_b32 v13, v190 offset:2176                         // 00000000534C: D81A0880 0000BE0D
	ds_write_b32 v13, v191 offset:3232                         // 000000005354: D81A0CA0 0000BF0D
	ds_write_b32 v13, v192 offset:4352                         // 00000000535C: D81A1100 0000C00D
	ds_write_b32 v13, v193 offset:5408                         // 000000005364: D81A1520 0000C10D
	ds_write_b32 v13, v194 offset:6528                         // 00000000536C: D81A1980 0000C20D
	ds_write_b32 v13, v195 offset:7584                         // 000000005374: D81A1DA0 0000C30D
	buffer_load_dword v40, v1, s[8:11], 0 idxen                // 00000000537C: E0502000 80022801
	buffer_load_dword v41, v2, s[8:11], 0 idxen                // 000000005384: E0502000 80022902
	buffer_load_dword v42, v3, s[8:11], 0 idxen                // 00000000538C: E0502000 80022A03
	buffer_load_dword v43, v4, s[8:11], 0 idxen                // 000000005394: E0502000 80022B04
	buffer_load_dword v48, v232, s[20:23], 0 idxen             // 00000000539C: E0502000 800530E8
	buffer_load_dword v49, v233, s[20:23], 0 idxen             // 0000000053A4: E0502000 800531E9
	buffer_load_dword v50, v234, s[20:23], 0 idxen             // 0000000053AC: E0502000 800532EA
	buffer_load_dword v51, v235, s[20:23], 0 idxen             // 0000000053B4: E0502000 800533EB
	s_waitcnt lgkmcnt(0)                                       // 0000000053BC: BF8CC07F
	s_barrier                                                  // 0000000053C0: BF8A0000
	ds_read_b128 a[80:83], v24                                 // 0000000053C4: DBFE0000 50000018
	ds_read_b128 a[84:87], v24 offset:512                      // 0000000053CC: DBFE0200 54000018
	s_add_u32 s60, 64, s59                                     // 0000000053D4: 803C3BC0
	s_cmp_lt_u32 s60, s58                                      // 0000000053D8: BF0A3A3C
	s_cselect_b32 s68, s68, 0                                  // 0000000053DC: 85448044
	s_cselect_b32 s99, s99, 0                                  // 0000000053E0: 85638063
	v_add_u32_e32 v1, s68, v1                                  // 0000000053E4: 68020244
	v_add_u32_e32 v2, s68, v2                                  // 0000000053E8: 68040444
	v_add_u32_e32 v3, s68, v3                                  // 0000000053EC: 68060644
	v_add_u32_e32 v4, s68, v4                                  // 0000000053F0: 68080844
	v_add_u32_e32 v232, s99, v232                              // 0000000053F4: 69D1D063
	v_add_u32_e32 v233, s99, v233                              // 0000000053F8: 69D3D263
	v_add_u32_e32 v234, s99, v234                              // 0000000053FC: 69D5D463
	v_add_u32_e32 v235, s99, v235                              // 000000005400: 69D7D663
	s_waitcnt vmcnt(16) lgkmcnt(0)                             // 000000005404: BF8C4070
	s_barrier                                                  // 000000005408: BF8A0000
	s_cmp_lt_i32 2, s72                                        // 00000000540C: BF044882
	s_cbranch_scc1 label_050D                                  // 000000005410: BF850008
	v_mov_b32_e32 v196, 0                                      // 000000005414: 7F880280
	v_mov_b32_e32 v197, 0                                      // 000000005418: 7F8A0280
	v_mov_b32_e32 v198, 0                                      // 00000000541C: 7F8C0280
	v_mov_b32_e32 v199, 0                                      // 000000005420: 7F8E0280
	v_mov_b32_e32 v200, 0                                      // 000000005424: 7F900280
	v_mov_b32_e32 v201, 0                                      // 000000005428: 7F920280
	v_mov_b32_e32 v202, 0                                      // 00000000542C: 7F940280
	v_mov_b32_e32 v203, 0                                      // 000000005430: 7F960280

0000000000005434 <label_050D>:
	ds_write_b32 v13, v196                                     // 000000005434: D81A0000 0000C40D
	ds_write_b32 v13, v197 offset:1056                         // 00000000543C: D81A0420 0000C50D
	ds_write_b32 v13, v198 offset:2176                         // 000000005444: D81A0880 0000C60D
	ds_write_b32 v13, v199 offset:3232                         // 00000000544C: D81A0CA0 0000C70D
	ds_write_b32 v13, v200 offset:4352                         // 000000005454: D81A1100 0000C80D
	ds_write_b32 v13, v201 offset:5408                         // 00000000545C: D81A1520 0000C90D
	ds_write_b32 v13, v202 offset:6528                         // 000000005464: D81A1980 0000CA0D
	ds_write_b32 v13, v203 offset:7584                         // 00000000546C: D81A1DA0 0000CB0D
	s_waitcnt lgkmcnt(0)                                       // 000000005474: BF8CC07F
	s_barrier                                                  // 000000005478: BF8A0000
	ds_read_b128 a[88:91], v24                                 // 00000000547C: DBFE0000 58000018
	ds_read_b128 a[92:95], v24 offset:512                      // 000000005484: DBFE0200 5C000018
	s_waitcnt vmcnt(8) lgkmcnt(0)                              // 00000000548C: BF8C0078
	s_barrier                                                  // 000000005490: BF8A0000
	buffer_load_dword v11, s[24:27], 0 idxen lds               // 000000005494: E0512000 8006000B
	s_mov_b32 m0, s81                                          // 00000000549C: BEFC0051
	v_add_u32_e32 v11, s69, v11                                // 0000000054A0: 68161645
	v_perm_b32 v100, v37, v36, s63                             // 0000000054A4: D1ED0064 00FE4925
	v_perm_b32 v101, v37, v36, s64                             // 0000000054AC: D1ED0065 01024925
	v_perm_b32 v102, v39, v38, s63                             // 0000000054B4: D1ED0066 00FE4D27
	v_perm_b32 v103, v39, v38, s64                             // 0000000054BC: D1ED0067 01024D27
	ds_write_b32 v15, v100 offset:4352                         // 0000000054C4: D81A1100 0000640F
	ds_write_b32 v15, v101 offset:5408                         // 0000000054CC: D81A1520 0000650F
	ds_write_b32 v15, v102 offset:6528                         // 0000000054D4: D81A1980 0000660F
	ds_write_b32 v15, v103 offset:7584                         // 0000000054DC: D81A1DA0 0000670F
	ds_write_b32 v13, v36                                      // 0000000054E4: D81A0000 0000240D
	ds_write_b32 v13, v37 offset:1056                          // 0000000054EC: D81A0420 0000250D
	ds_write_b32 v13, v38 offset:2176                          // 0000000054F4: D81A0880 0000260D
	ds_write_b32 v13, v39 offset:3232                          // 0000000054FC: D81A0CA0 0000270D
	buffer_load_dword v11, s[24:27], 0 idxen lds               // 000000005504: E0512000 8006000B
	s_add_u32 s60, 64, s59                                     // 00000000550C: 803C3BC0
	s_cmp_lt_u32 s60, s58                                      // 000000005510: BF0A3A3C
	s_cselect_b32 s69, s69, 0                                  // 000000005514: 85458045
	s_mov_b32 m0, s80                                          // 000000005518: BEFC0050
	v_add_u32_e32 v11, s69, v11                                // 00000000551C: 68161645
	v_perm_b32 v104, v45, v44, s63                             // 000000005520: D1ED0068 00FE592D
	v_perm_b32 v105, v45, v44, s64                             // 000000005528: D1ED0069 0102592D
	v_perm_b32 v106, v47, v46, s63                             // 000000005530: D1ED006A 00FE5D2F
	v_perm_b32 v107, v47, v46, s64                             // 000000005538: D1ED006B 01025D2F
	ds_write_b32 v15, v104 offset:13056                        // 000000005540: D81A3300 0000680F
	ds_write_b32 v15, v105 offset:14112                        // 000000005548: D81A3720 0000690F
	ds_write_b32 v15, v106 offset:15232                        // 000000005550: D81A3B80 00006A0F
	ds_write_b32 v15, v107 offset:16288                        // 000000005558: D81A3FA0 00006B0F
	ds_write_b32 v13, v44 offset:8704                          // 000000005560: D81A2200 00002C0D
	ds_write_b32 v13, v45 offset:9760                          // 000000005568: D81A2620 00002D0D
	ds_write_b32 v13, v46 offset:10880                         // 000000005570: D81A2A80 00002E0D
	ds_write_b32 v13, v47 offset:11936                         // 000000005578: D81A2EA0 00002F0D
	s_waitcnt vmcnt(1) lgkmcnt(0)                              // 000000005580: BF8C0071
	s_barrier                                                  // 000000005584: BF8A0000
	ds_read_b128 a[96:99], v12                                 // 000000005588: DBFE0000 6000000C
	ds_read_b128 a[100:103], v12 offset:512                    // 000000005590: DBFE0200 6400000C
	ds_read_b128 a[104:107], v12 offset:2176                   // 000000005598: DBFE0880 6800000C
	ds_read_b128 a[108:111], v12 offset:2688                   // 0000000055A0: DBFE0A80 6C00000C
	ds_read_b128 v[108:111], v12 offset:8704                   // 0000000055A8: D9FE2200 6C00000C
	ds_read_b128 v[112:115], v12 offset:9216                   // 0000000055B0: D9FE2400 7000000C
	ds_read_b128 v[116:119], v12 offset:10880                  // 0000000055B8: D9FE2A80 7400000C
	ds_read_b128 v[120:123], v12 offset:11392                  // 0000000055C0: D9FE2C80 7800000C
	ds_read_b32 v140, v23 offset:39424                         // 0000000055C8: D86C9A00 8C000017
	ds_read_b32 v144, v23 offset:39488                         // 0000000055D0: D86C9A40 90000017
	ds_read_b32 v176, v23 offset:39680                         // 0000000055D8: D86C9B00 B0000017
	ds_read_b32 v177, v23 offset:39744                         // 0000000055E0: D86C9B40 B1000017
	v_accvgpr_write_b32 a112, 0                                // 0000000055E8: D3D94070 18000080
	v_mov_b32_e32 v180, 0                                      // 0000000055F0: 7F680280
	v_accvgpr_write_b32 a113, 0                                // 0000000055F4: D3D94071 18000080
	v_mov_b32_e32 v181, 0                                      // 0000000055FC: 7F6A0280
	v_accvgpr_write_b32 a114, 0                                // 000000005600: D3D94072 18000080
	v_mov_b32_e32 v182, 0                                      // 000000005608: 7F6C0280
	v_accvgpr_write_b32 a115, 0                                // 00000000560C: D3D94073 18000080
	v_mov_b32_e32 v183, 0                                      // 000000005614: 7F6E0280
	v_accvgpr_write_b32 a116, 0                                // 000000005618: D3D94074 18000080
	v_mov_b32_e32 v184, 0                                      // 000000005620: 7F700280
	v_accvgpr_write_b32 a117, 0                                // 000000005624: D3D94075 18000080
	v_mov_b32_e32 v185, 0                                      // 00000000562C: 7F720280
	v_accvgpr_write_b32 a118, 0                                // 000000005630: D3D94076 18000080
	v_mov_b32_e32 v186, 0                                      // 000000005638: 7F740280
	v_accvgpr_write_b32 a119, 0                                // 00000000563C: D3D94077 18000080
	v_mov_b32_e32 v187, 0                                      // 000000005644: 7F760280
	v_accvgpr_write_b32 a120, 0                                // 000000005648: D3D94078 18000080
	v_mov_b32_e32 v188, 0                                      // 000000005650: 7F780280
	v_accvgpr_write_b32 a121, 0                                // 000000005654: D3D94079 18000080
	v_mov_b32_e32 v189, 0                                      // 00000000565C: 7F7A0280
	v_accvgpr_write_b32 a122, 0                                // 000000005660: D3D9407A 18000080
	v_mov_b32_e32 v190, 0                                      // 000000005668: 7F7C0280
	v_accvgpr_write_b32 a123, 0                                // 00000000566C: D3D9407B 18000080
	v_mov_b32_e32 v191, 0                                      // 000000005674: 7F7E0280
	v_accvgpr_write_b32 a124, 0                                // 000000005678: D3D9407C 18000080
	v_mov_b32_e32 v192, 0                                      // 000000005680: 7F800280
	v_accvgpr_write_b32 a125, 0                                // 000000005684: D3D9407D 18000080
	v_mov_b32_e32 v193, 0                                      // 00000000568C: 7F820280
	v_accvgpr_write_b32 a126, 0                                // 000000005690: D3D9407E 18000080
	v_mov_b32_e32 v194, 0                                      // 000000005698: 7F840280
	v_accvgpr_write_b32 a127, 0                                // 00000000569C: D3D9407F 18000080
	v_mov_b32_e32 v195, 0                                      // 0000000056A4: 7F860280
	v_accvgpr_write_b32 a128, 0                                // 0000000056A8: D3D94080 18000080
	v_mov_b32_e32 v196, 0                                      // 0000000056B0: 7F880280
	v_accvgpr_write_b32 a129, 0                                // 0000000056B4: D3D94081 18000080
	v_mov_b32_e32 v197, 0                                      // 0000000056BC: 7F8A0280
	v_accvgpr_write_b32 a130, 0                                // 0000000056C0: D3D94082 18000080
	v_mov_b32_e32 v198, 0                                      // 0000000056C8: 7F8C0280
	v_accvgpr_write_b32 a131, 0                                // 0000000056CC: D3D94083 18000080
	v_mov_b32_e32 v199, 0                                      // 0000000056D4: 7F8E0280
	v_accvgpr_write_b32 a132, 0                                // 0000000056D8: D3D94084 18000080
	v_mov_b32_e32 v200, 0                                      // 0000000056E0: 7F900280
	v_accvgpr_write_b32 a133, 0                                // 0000000056E4: D3D94085 18000080
	v_mov_b32_e32 v201, 0                                      // 0000000056EC: 7F920280
	v_accvgpr_write_b32 a134, 0                                // 0000000056F0: D3D94086 18000080
	v_mov_b32_e32 v202, 0                                      // 0000000056F8: 7F940280
	v_accvgpr_write_b32 a135, 0                                // 0000000056FC: D3D94087 18000080
	v_mov_b32_e32 v203, 0                                      // 000000005704: 7F960280
	v_accvgpr_write_b32 a136, 0                                // 000000005708: D3D94088 18000080
	v_mov_b32_e32 v204, 0                                      // 000000005710: 7F980280
	v_accvgpr_write_b32 a137, 0                                // 000000005714: D3D94089 18000080
	v_mov_b32_e32 v205, 0                                      // 00000000571C: 7F9A0280
	v_accvgpr_write_b32 a138, 0                                // 000000005720: D3D9408A 18000080
	v_mov_b32_e32 v206, 0                                      // 000000005728: 7F9C0280
	v_accvgpr_write_b32 a139, 0                                // 00000000572C: D3D9408B 18000080
	v_mov_b32_e32 v207, 0                                      // 000000005734: 7F9E0280
	v_accvgpr_write_b32 a140, 0                                // 000000005738: D3D9408C 18000080
	v_mov_b32_e32 v208, 0                                      // 000000005740: 7FA00280
	v_accvgpr_write_b32 a141, 0                                // 000000005744: D3D9408D 18000080
	v_mov_b32_e32 v209, 0                                      // 00000000574C: 7FA20280
	v_accvgpr_write_b32 a142, 0                                // 000000005750: D3D9408E 18000080
	v_mov_b32_e32 v210, 0                                      // 000000005758: 7FA40280
	v_accvgpr_write_b32 a143, 0                                // 00000000575C: D3D9408F 18000080
	v_mov_b32_e32 v211, 0                                      // 000000005764: 7FA60280
	v_accvgpr_write_b32 a144, 0                                // 000000005768: D3D94090 18000080
	v_mov_b32_e32 v212, 0                                      // 000000005770: 7FA80280
	v_accvgpr_write_b32 a145, 0                                // 000000005774: D3D94091 18000080
	v_mov_b32_e32 v213, 0                                      // 00000000577C: 7FAA0280
	v_accvgpr_write_b32 a146, 0                                // 000000005780: D3D94092 18000080
	v_mov_b32_e32 v214, 0                                      // 000000005788: 7FAC0280
	v_accvgpr_write_b32 a147, 0                                // 00000000578C: D3D94093 18000080
	v_mov_b32_e32 v215, 0                                      // 000000005794: 7FAE0280
	v_accvgpr_write_b32 a148, 0                                // 000000005798: D3D94094 18000080
	v_mov_b32_e32 v216, 0                                      // 0000000057A0: 7FB00280
	v_accvgpr_write_b32 a149, 0                                // 0000000057A4: D3D94095 18000080
	v_mov_b32_e32 v217, 0                                      // 0000000057AC: 7FB20280
	v_accvgpr_write_b32 a150, 0                                // 0000000057B0: D3D94096 18000080
	v_mov_b32_e32 v218, 0                                      // 0000000057B8: 7FB40280
	v_accvgpr_write_b32 a151, 0                                // 0000000057BC: D3D94097 18000080
	v_mov_b32_e32 v219, 0                                      // 0000000057C4: 7FB60280
	v_accvgpr_write_b32 a152, 0                                // 0000000057C8: D3D94098 18000080
	v_mov_b32_e32 v220, 0                                      // 0000000057D0: 7FB80280
	v_accvgpr_write_b32 a153, 0                                // 0000000057D4: D3D94099 18000080
	v_mov_b32_e32 v221, 0                                      // 0000000057DC: 7FBA0280
	v_accvgpr_write_b32 a154, 0                                // 0000000057E0: D3D9409A 18000080
	v_mov_b32_e32 v222, 0                                      // 0000000057E8: 7FBC0280
	v_accvgpr_write_b32 a155, 0                                // 0000000057EC: D3D9409B 18000080
	v_mov_b32_e32 v223, 0                                      // 0000000057F4: 7FBE0280
	v_accvgpr_write_b32 a156, 0                                // 0000000057F8: D3D9409C 18000080
	v_mov_b32_e32 v224, 0                                      // 000000005800: 7FC00280
	v_accvgpr_write_b32 a157, 0                                // 000000005804: D3D9409D 18000080
	v_mov_b32_e32 v225, 0                                      // 00000000580C: 7FC20280
	v_accvgpr_write_b32 a158, 0                                // 000000005810: D3D9409E 18000080
	v_mov_b32_e32 v226, 0                                      // 000000005818: 7FC40280
	v_accvgpr_write_b32 a159, 0                                // 00000000581C: D3D9409F 18000080
	v_mov_b32_e32 v227, 0                                      // 000000005824: 7FC60280
	v_mov_b32_e32 v156, 0                                      // 000000005828: 7F380280
	v_mov_b32_e32 v157, 0                                      // 00000000582C: 7F3A0280
	v_mov_b32_e32 v158, 0                                      // 000000005830: 7F3C0280
	v_mov_b32_e32 v159, 0                                      // 000000005834: 7F3E0280
	v_mov_b32_e32 v160, 0                                      // 000000005838: 7F400280
	v_mov_b32_e32 v161, 0                                      // 00000000583C: 7F420280
	v_mov_b32_e32 v162, 0                                      // 000000005840: 7F440280
	v_mov_b32_e32 v163, 0                                      // 000000005844: 7F460280
	v_mov_b32_e32 v148, 0                                      // 000000005848: 7F280280
	v_mov_b32_e32 v149, 0                                      // 00000000584C: 7F2A0280
	v_mov_b32_e32 v150, 0                                      // 000000005850: 7F2C0280
	v_mov_b32_e32 v151, 0                                      // 000000005854: 7F2E0280
	v_mov_b32_e32 v152, 0                                      // 000000005858: 7F300280
	v_mov_b32_e32 v153, 0                                      // 00000000585C: 7F320280
	v_mov_b32_e32 v154, 0                                      // 000000005860: 7F340280
	v_mov_b32_e32 v155, 0                                      // 000000005864: 7F360280
	s_waitcnt lgkmcnt(0)                                       // 000000005868: BF8CC07F
	s_barrier                                                  // 00000000586C: BF8A0000
	buffer_load_dword v36, v1, s[8:11], 0 idxen                // 000000005870: E0502000 80022401
	buffer_load_dword v37, v2, s[8:11], 0 idxen                // 000000005878: E0502000 80022502
	;; [unrolled: 1-line block ×4, first 2 shown]
	buffer_load_dword v44, v232, s[20:23], 0 idxen             // 000000005890: E0502000 80052CE8
	buffer_load_dword v45, v233, s[20:23], 0 idxen             // 000000005898: E0502000 80052DE9
	buffer_load_dword v46, v234, s[20:23], 0 idxen             // 0000000058A0: E0502000 80052EEA
	buffer_load_dword v47, v235, s[20:23], 0 idxen             // 0000000058A8: E0502000 80052FEB
	buffer_load_dword v11, s[24:27], 0 idxen lds               // 0000000058B0: E0512000 8006000B
	s_add_u32 s60, 0x60, s59                                   // 0000000058B8: 803C3BFF 00000060
	s_cmp_lt_u32 s60, s58                                      // 0000000058C0: BF0A3A3C
	s_cselect_b32 s68, s68, 0                                  // 0000000058C4: 85448044
	s_cselect_b32 s99, s99, 0                                  // 0000000058C8: 85638063
	s_cselect_b32 s69, s69, 0                                  // 0000000058CC: 85458045
	s_mov_b32 m0, s81                                          // 0000000058D0: BEFC0051
	v_add_u32_e32 v11, s69, v11                                // 0000000058D4: 68161645
	v_add_u32_e32 v1, s68, v1                                  // 0000000058D8: 68020244
	v_add_u32_e32 v2, s68, v2                                  // 0000000058DC: 68040444
	v_add_u32_e32 v3, s68, v3                                  // 0000000058E0: 68060644
	v_add_u32_e32 v4, s68, v4                                  // 0000000058E4: 68080844
	v_add_u32_e32 v232, s99, v232                              // 0000000058E8: 69D1D063
	v_add_u32_e32 v233, s99, v233                              // 0000000058EC: 69D3D263
	v_add_u32_e32 v234, s99, v234                              // 0000000058F0: 69D5D463
	v_add_u32_e32 v235, s99, v235                              // 0000000058F4: 69D7D663
	v_mul_f32_e32 v140, s48, v140                              // 0000000058F8: 0B191830
	v_mul_f32_e32 v144, s48, v144                              // 0000000058FC: 0B212030
	v_perm_b32 v100, v41, v40, s63                             // 000000005900: D1ED0064 00FE5129
	v_perm_b32 v101, v41, v40, s64                             // 000000005908: D1ED0065 01025129
	v_perm_b32 v102, v43, v42, s63                             // 000000005910: D1ED0066 00FE552B
	v_perm_b32 v103, v43, v42, s64                             // 000000005918: D1ED0067 0102552B
	v_perm_b32 v104, v49, v48, s63                             // 000000005920: D1ED0068 00FE6131
	v_perm_b32 v105, v49, v48, s64                             // 000000005928: D1ED0069 01026131
	v_perm_b32 v106, v51, v50, s63                             // 000000005930: D1ED006A 00FE6533
	v_perm_b32 v107, v51, v50, s64                             // 000000005938: D1ED006B 01026533
	v_mov_b32_dpp v143, v140 quad_perm:[3,3,3,3] row_mask:0xf bank_mask:0xf// 000000005940: 7F1E02FA FF00FF8C
	v_mov_b32_dpp v142, v140 quad_perm:[2,2,2,2] row_mask:0xf bank_mask:0xf// 000000005948: 7F1C02FA FF00AA8C
	v_mov_b32_dpp v141, v140 quad_perm:[1,1,1,1] row_mask:0xf bank_mask:0xf// 000000005950: 7F1A02FA FF00558C
	v_mov_b32_dpp v140, v140 quad_perm:[0,0,0,0] row_mask:0xf bank_mask:0xf// 000000005958: 7F1802FA FF00008C
	v_mov_b32_dpp v147, v144 quad_perm:[3,3,3,3] row_mask:0xf bank_mask:0xf// 000000005960: 7F2602FA FF00FF90
	v_mov_b32_dpp v146, v144 quad_perm:[2,2,2,2] row_mask:0xf bank_mask:0xf// 000000005968: 7F2402FA FF00AA90
	v_mov_b32_dpp v145, v144 quad_perm:[1,1,1,1] row_mask:0xf bank_mask:0xf// 000000005970: 7F2202FA FF005590
	v_mov_b32_dpp v144, v144 quad_perm:[0,0,0,0] row_mask:0xf bank_mask:0xf// 000000005978: 7F2002FA FF000090
	s_waitcnt vmcnt(9)                                         // 000000005980: BF8C0F79
	s_barrier                                                  // 000000005984: BF8A0000
	s_cmp_lt_i32 s46, 2                                        // 000000005988: BF04822E
	s_cbranch_scc0 label_0E04                                  // 00000000598C: BF84078E
	s_nop 0                                                    // 000000005990: BF800000
	s_nop 0                                                    // 000000005994: BF800000

0000000000005998 <label_0666>:
	s_waitcnt lgkmcnt(0)                                       // 000000005998: BF8CC07F
	s_barrier                                                  // 00000000599C: BF8A0000
	v_mfma_f32_16x16x16_bf16 v[52:55], a[96:97], a[0:1], 0     // 0000000059A0: D3E10034 1A020160
	ds_write_b32 v13, v48 offset:8704                          // 0000000059A8: D81A2200 0000300D
	ds_write_b32 v13, v49 offset:9760                          // 0000000059B0: D81A2620 0000310D
	v_mfma_f32_16x16x16_bf16 v[52:55], a[98:99], a[2:3], v[52:55]// 0000000059B8: D3E10034 1CD20562
	v_mul_f32_e32 v148, s47, v148                              // 0000000059C0: 0B29282F
	v_mul_f32_e32 v149, s47, v149                              // 0000000059C4: 0B2B2A2F
	v_mfma_f32_16x16x16_bf16 v[52:55], a[100:101], a[4:5], v[52:55]// 0000000059C8: D3E10034 1CD20964
	ds_write_b32 v13, v50 offset:10880                         // 0000000059D0: D81A2A80 0000320D
	ds_write_b32 v13, v51 offset:11936                         // 0000000059D8: D81A2EA0 0000330D
	v_mfma_f32_16x16x16_bf16 v[52:55], a[102:103], a[6:7], v[52:55]// 0000000059E0: D3E10034 1CD20D66
	v_mul_f32_e32 v150, s47, v150                              // 0000000059E8: 0B2D2C2F
	v_mul_f32_e32 v151, s47, v151                              // 0000000059EC: 0B2F2E2F
	v_mfma_f32_16x16x16_bf16 v[56:59], a[96:97], a[8:9], 0     // 0000000059F0: D3E10038 1A021160
	ds_write_b64 v22, v[148:149] offset:31232                  // 0000000059F8: D89A7A00 00009416
	v_mfma_f32_16x16x16_bf16 v[56:59], a[98:99], a[10:11], v[56:59]// 000000005A00: D3E10038 1CE21562
	v_mul_f32_e32 v152, s47, v152                              // 000000005A08: 0B31302F
	v_mul_f32_e32 v153, s47, v153                              // 000000005A0C: 0B33322F
	v_mfma_f32_16x16x16_bf16 v[56:59], a[100:101], a[12:13], v[56:59]// 000000005A10: D3E10038 1CE21964
	ds_write_b64 v22, v[150:151] offset:31744                  // 000000005A18: D89A7C00 00009616
	v_mfma_f32_16x16x16_bf16 v[56:59], a[102:103], a[14:15], v[56:59]// 000000005A20: D3E10038 1CE21D66
	v_mul_f32_e32 v154, s47, v154                              // 000000005A28: 0B35342F
	v_mul_f32_e32 v155, s47, v155                              // 000000005A2C: 0B37362F
	v_mfma_f32_16x16x16_bf16 v[60:63], a[96:97], a[16:17], 0   // 000000005A30: D3E1003C 1A022160
	ds_write_b64 v22, v[152:153] offset:32256                  // 000000005A38: D89A7E00 00009816
	v_mfma_f32_16x16x16_bf16 v[60:63], a[98:99], a[18:19], v[60:63]// 000000005A40: D3E1003C 1CF22562
	buffer_atomic_add_f32 v160, v8, s[32:35], 0 idxen          // 000000005A48: E1342000 8008A008
	v_mfma_f32_16x16x16_bf16 v[60:63], a[100:101], a[20:21], v[60:63]// 000000005A50: D3E1003C 1CF22964
	ds_write_b64 v22, v[154:155] offset:32768                  // 000000005A58: D89A8000 00009A16
	v_mfma_f32_16x16x16_bf16 v[60:63], a[102:103], a[22:23], v[60:63]// 000000005A60: D3E1003C 1CF22D66
	v_mfma_f32_16x16x16_bf16 v[64:67], a[104:105], a[0:1], 0   // 000000005A68: D3E10040 1A020168
	ds_read_b128 v[124:127], v14 offset:13056                  // 000000005A70: D9FE3300 7C00000E
	ds_write_b32 v13, v40                                      // 000000005A78: D81A0000 0000280D
	v_mfma_f32_16x16x16_bf16 v[64:67], a[106:107], a[2:3], v[64:67]// 000000005A80: D3E10040 1D02056A
	buffer_atomic_add_f32 v161, v9, s[32:35], 0 idxen          // 000000005A88: E1342000 8008A109
	v_mfma_f32_16x16x16_bf16 v[64:67], a[108:109], a[4:5], v[64:67]// 000000005A90: D3E10040 1D02096C
	v_mfma_f32_16x16x16_bf16 v[64:67], a[110:111], a[6:7], v[64:67]// 000000005A98: D3E10040 1D020D6E
	ds_read_b128 v[128:131], v14 offset:13568                  // 000000005AA0: D9FE3500 8000000E
	ds_write_b32 v13, v41 offset:1056                          // 000000005AA8: D81A0420 0000290D
	v_mfma_f32_16x16x16_bf16 v[68:71], a[104:105], a[8:9], 0   // 000000005AB0: D3E10044 1A021168
	buffer_atomic_add_f32 v162, v8, s[32:35], 0 idxen offset:128// 000000005AB8: E1342080 8008A208
	v_mfma_f32_16x16x16_bf16 v[68:71], a[106:107], a[10:11], v[68:71]// 000000005AC0: D3E10044 1D12156A
	v_mfma_f32_16x16x16_bf16 v[68:71], a[108:109], a[12:13], v[68:71]// 000000005AC8: D3E10044 1D12196C
	ds_read_b128 v[132:135], v14 offset:15232                  // 000000005AD0: D9FE3B80 8400000E
	ds_write_b32 v13, v42 offset:2176                          // 000000005AD8: D81A0880 00002A0D
	v_mfma_f32_16x16x16_bf16 v[68:71], a[110:111], a[14:15], v[68:71]// 000000005AE0: D3E10044 1D121D6E
	v_mfma_f32_16x16x16_bf16 v[72:75], a[104:105], a[16:17], 0 // 000000005AE8: D3E10048 1A022168
	buffer_atomic_add_f32 v163, v9, s[32:35], 0 idxen offset:128// 000000005AF0: E1342080 8008A309
	v_mfma_f32_16x16x16_bf16 v[72:75], a[106:107], a[18:19], v[72:75]// 000000005AF8: D3E10048 1D22256A
	ds_read_b128 v[136:139], v14 offset:15744                  // 000000005B00: D9FE3D80 8800000E
	ds_write_b32 v13, v43 offset:3232                          // 000000005B08: D81A0CA0 00002B0D
	v_mfma_f32_16x16x16_bf16 v[72:75], a[108:109], a[20:21], v[72:75]// 000000005B10: D3E10048 1D22296C
	v_mfma_f32_16x16x16_bf16 v[72:75], a[110:111], a[22:23], v[72:75]// 000000005B18: D3E10048 1D222D6E
	s_cmp_eq_i32 s94, 0                                        // 000000005B20: BF00805E
	s_cbranch_scc1 label_07C3                                  // 000000005B24: BF8500F0
	s_cmp_lt_i32 s74, 6                                        // 000000005B28: BF04864A
	s_cbranch_scc0 label_074A                                  // 000000005B2C: BF84007E
	s_lshl_b32 s60, s74, 5                                     // 000000005B30: 8E3C854A
	s_lshl_b32 s61, 0, 4                                       // 000000005B34: 8E3D8480
	s_add_i32 s60, s60, s61                                    // 000000005B38: 813C3D3C
	v_sub_i32 v32, v236, s60                                   // 000000005B3C: D29D0020 000079EC
	s_mov_b32 s61, 0                                           // 000000005B44: BEBD0080
	v_add_i32 v33, v32, s61                                    // 000000005B48: D29C0021 00007B20
	v_cmp_gt_i32_e64 s[90:91], v33, 0                          // 000000005B50: D0C4005A 00010121
	v_cmp_gt_i32_e64 s[92:93], v33, 1                          // 000000005B58: D0C4005C 00010321
	v_cndmask_b32_e64 v52, v52, v178, s[90:91]                 // 000000005B60: D1000034 016B6534
	v_cndmask_b32_e64 v53, v53, v178, s[92:93]                 // 000000005B68: D1000035 01736535
	v_cmp_gt_i32_e64 s[90:91], v33, 2                          // 000000005B70: D0C4005A 00010521
	v_cmp_gt_i32_e64 s[92:93], v33, 3                          // 000000005B78: D0C4005C 00010721
	v_cndmask_b32_e64 v54, v54, v178, s[90:91]                 // 000000005B80: D1000036 016B6536
	v_cndmask_b32_e64 v55, v55, v178, s[92:93]                 // 000000005B88: D1000037 01736537
	s_mov_b32 s61, 64                                          // 000000005B90: BEBD00C0
	v_add_i32 v33, v32, s61                                    // 000000005B94: D29C0021 00007B20
	v_cmp_gt_i32_e64 s[90:91], v33, 0                          // 000000005B9C: D0C4005A 00010121
	v_cmp_gt_i32_e64 s[92:93], v33, 1                          // 000000005BA4: D0C4005C 00010321
	v_cndmask_b32_e64 v56, v56, v178, s[90:91]                 // 000000005BAC: D1000038 016B6538
	v_cndmask_b32_e64 v57, v57, v178, s[92:93]                 // 000000005BB4: D1000039 01736539
	v_cmp_gt_i32_e64 s[90:91], v33, 2                          // 000000005BBC: D0C4005A 00010521
	v_cmp_gt_i32_e64 s[92:93], v33, 3                          // 000000005BC4: D0C4005C 00010721
	v_cndmask_b32_e64 v58, v58, v178, s[90:91]                 // 000000005BCC: D100003A 016B653A
	v_cndmask_b32_e64 v59, v59, v178, s[92:93]                 // 000000005BD4: D100003B 0173653B
	s_mov_b32 s61, 0x80                                        // 000000005BDC: BEBD00FF 00000080
	v_add_i32 v33, v32, s61                                    // 000000005BE4: D29C0021 00007B20
	v_cmp_gt_i32_e64 s[90:91], v33, 0                          // 000000005BEC: D0C4005A 00010121
	v_cmp_gt_i32_e64 s[92:93], v33, 1                          // 000000005BF4: D0C4005C 00010321
	v_cndmask_b32_e64 v60, v60, v178, s[90:91]                 // 000000005BFC: D100003C 016B653C
	v_cndmask_b32_e64 v61, v61, v178, s[92:93]                 // 000000005C04: D100003D 0173653D
	v_cmp_gt_i32_e64 s[90:91], v33, 2                          // 000000005C0C: D0C4005A 00010521
	v_cmp_gt_i32_e64 s[92:93], v33, 3                          // 000000005C14: D0C4005C 00010721
	v_cndmask_b32_e64 v62, v62, v178, s[90:91]                 // 000000005C1C: D100003E 016B653E
	v_cndmask_b32_e64 v63, v63, v178, s[92:93]                 // 000000005C24: D100003F 0173653F
	s_lshl_b32 s60, s74, 5                                     // 000000005C2C: 8E3C854A
	s_lshl_b32 s61, 1, 4                                       // 000000005C30: 8E3D8481
	s_add_i32 s60, s60, s61                                    // 000000005C34: 813C3D3C
	v_sub_i32 v32, v236, s60                                   // 000000005C38: D29D0020 000079EC
	s_mov_b32 s61, 0                                           // 000000005C40: BEBD0080
	v_add_i32 v33, v32, s61                                    // 000000005C44: D29C0021 00007B20
	v_cmp_gt_i32_e64 s[90:91], v33, 0                          // 000000005C4C: D0C4005A 00010121
	v_cmp_gt_i32_e64 s[92:93], v33, 1                          // 000000005C54: D0C4005C 00010321
	v_cndmask_b32_e64 v64, v64, v178, s[90:91]                 // 000000005C5C: D1000040 016B6540
	v_cndmask_b32_e64 v65, v65, v178, s[92:93]                 // 000000005C64: D1000041 01736541
	v_cmp_gt_i32_e64 s[90:91], v33, 2                          // 000000005C6C: D0C4005A 00010521
	v_cmp_gt_i32_e64 s[92:93], v33, 3                          // 000000005C74: D0C4005C 00010721
	v_cndmask_b32_e64 v66, v66, v178, s[90:91]                 // 000000005C7C: D1000042 016B6542
	v_cndmask_b32_e64 v67, v67, v178, s[92:93]                 // 000000005C84: D1000043 01736543
	s_mov_b32 s61, 64                                          // 000000005C8C: BEBD00C0
	v_add_i32 v33, v32, s61                                    // 000000005C90: D29C0021 00007B20
	v_cmp_gt_i32_e64 s[90:91], v33, 0                          // 000000005C98: D0C4005A 00010121
	v_cmp_gt_i32_e64 s[92:93], v33, 1                          // 000000005CA0: D0C4005C 00010321
	v_cndmask_b32_e64 v68, v68, v178, s[90:91]                 // 000000005CA8: D1000044 016B6544
	v_cndmask_b32_e64 v69, v69, v178, s[92:93]                 // 000000005CB0: D1000045 01736545
	v_cmp_gt_i32_e64 s[90:91], v33, 2                          // 000000005CB8: D0C4005A 00010521
	v_cmp_gt_i32_e64 s[92:93], v33, 3                          // 000000005CC0: D0C4005C 00010721
	v_cndmask_b32_e64 v70, v70, v178, s[90:91]                 // 000000005CC8: D1000046 016B6546
	v_cndmask_b32_e64 v71, v71, v178, s[92:93]                 // 000000005CD0: D1000047 01736547
	s_mov_b32 s61, 0x80                                        // 000000005CD8: BEBD00FF 00000080
	v_add_i32 v33, v32, s61                                    // 000000005CE0: D29C0021 00007B20
	v_cmp_gt_i32_e64 s[90:91], v33, 0                          // 000000005CE8: D0C4005A 00010121
	v_cmp_gt_i32_e64 s[92:93], v33, 1                          // 000000005CF0: D0C4005C 00010321
	v_cndmask_b32_e64 v72, v72, v178, s[90:91]                 // 000000005CF8: D1000048 016B6548
	v_cndmask_b32_e64 v73, v73, v178, s[92:93]                 // 000000005D00: D1000049 01736549
	v_cmp_gt_i32_e64 s[90:91], v33, 2                          // 000000005D08: D0C4005A 00010521
	v_cmp_gt_i32_e64 s[92:93], v33, 3                          // 000000005D10: D0C4005C 00010721
	v_cndmask_b32_e64 v74, v74, v178, s[90:91]                 // 000000005D18: D100004A 016B654A
	v_cndmask_b32_e64 v75, v75, v178, s[92:93]                 // 000000005D20: D100004B 0173654B

0000000000005d28 <label_074A>:
	s_cmp_lt_i32 s101, 0xc0                                    // 000000005D28: BF04FF65 000000C0
	s_cbranch_scc0 label_07C3                                  // 000000005D30: BF84006D
	s_cmp_le_i32 s101, 64                                      // 000000005D34: BF05C065
	s_cbranch_scc1 label_0756                                  // 000000005D38: BF850007
	s_cmp_le_i32 s101, 0x80                                    // 000000005D3C: BF05FF65 00000080
	s_cbranch_scc1 label_077A                                  // 000000005D44: BF85001F
	s_cmp_lt_i32 s101, 0xc0                                    // 000000005D48: BF04FF65 000000C0
	s_cbranch_scc1 label_079E                                  // 000000005D50: BF850040
	s_branch label_07C3                                        // 000000005D54: BF820064

0000000000005d58 <label_0756>:
	s_mov_b32 s60, 0                                           // 000000005D58: BEBC0080
	v_and_b32_e32 v32, 15, v0                                  // 000000005D5C: 2640008F
	v_add_u32_e64 v32, v32, s60                                // 000000005D60: D1340020 00007920
	v_mul_i32_i24_e64 v33, s46, 16                             // 000000005D68: D1060021 0001202E
	v_add_u32_e32 v32, v32, v33                                // 000000005D70: 68404320
	v_cmp_lt_u32_e64 s[60:61], v32, s101                       // 000000005D74: D0C9003C 0000CB20
	s_nop 1                                                    // 000000005D7C: BF800001
	v_cndmask_b32_e64 v52, v178, v52, s[60:61]                 // 000000005D80: D1000034 00F269B2
	v_cndmask_b32_e64 v64, v178, v64, s[60:61]                 // 000000005D88: D1000040 00F281B2
	v_cndmask_b32_e64 v53, v178, v53, s[60:61]                 // 000000005D90: D1000035 00F26BB2
	v_cndmask_b32_e64 v65, v178, v65, s[60:61]                 // 000000005D98: D1000041 00F283B2
	v_cndmask_b32_e64 v54, v178, v54, s[60:61]                 // 000000005DA0: D1000036 00F26DB2
	v_cndmask_b32_e64 v66, v178, v66, s[60:61]                 // 000000005DA8: D1000042 00F285B2
	v_cndmask_b32_e64 v55, v178, v55, s[60:61]                 // 000000005DB0: D1000037 00F26FB2
	v_cndmask_b32_e64 v67, v178, v67, s[60:61]                 // 000000005DB8: D1000043 00F287B2
	s_branch label_0795                                        // 000000005DC0: BF82001B

0000000000005dc4 <label_077A>:
	s_mov_b32 s60, 64                                          // 000000005DC4: BEBC00C0
	v_and_b32_e32 v32, 15, v0                                  // 000000005DC8: 2640008F
	v_add_u32_e64 v32, v32, s60                                // 000000005DCC: D1340020 00007920
	v_mul_i32_i24_e64 v33, s46, 16                             // 000000005DD4: D1060021 0001202E
	v_add_u32_e32 v32, v32, v33                                // 000000005DDC: 68404320
	v_cmp_lt_u32_e64 s[60:61], v32, s101                       // 000000005DE0: D0C9003C 0000CB20
	s_nop 1                                                    // 000000005DE8: BF800001
	v_cndmask_b32_e64 v56, v178, v56, s[60:61]                 // 000000005DEC: D1000038 00F271B2
	v_cndmask_b32_e64 v68, v178, v68, s[60:61]                 // 000000005DF4: D1000044 00F289B2
	v_cndmask_b32_e64 v57, v178, v57, s[60:61]                 // 000000005DFC: D1000039 00F273B2
	v_cndmask_b32_e64 v69, v178, v69, s[60:61]                 // 000000005E04: D1000045 00F28BB2
	v_cndmask_b32_e64 v58, v178, v58, s[60:61]                 // 000000005E0C: D100003A 00F275B2
	v_cndmask_b32_e64 v70, v178, v70, s[60:61]                 // 000000005E14: D1000046 00F28DB2
	v_cndmask_b32_e64 v59, v178, v59, s[60:61]                 // 000000005E1C: D100003B 00F277B2
	v_cndmask_b32_e64 v71, v178, v71, s[60:61]                 // 000000005E24: D1000047 00F28FB2
	s_branch label_07BA                                        // 000000005E2C: BF820025

0000000000005e30 <label_0795>:
	v_mov_b32_e32 v56, v178                                    // 000000005E30: 7E7003B2
	v_mov_b32_e32 v68, v178                                    // 000000005E34: 7E8803B2
	v_mov_b32_e32 v57, v178                                    // 000000005E38: 7E7203B2
	v_mov_b32_e32 v69, v178                                    // 000000005E3C: 7E8A03B2
	v_mov_b32_e32 v58, v178                                    // 000000005E40: 7E7403B2
	v_mov_b32_e32 v70, v178                                    // 000000005E44: 7E8C03B2
	v_mov_b32_e32 v59, v178                                    // 000000005E48: 7E7603B2
	v_mov_b32_e32 v71, v178                                    // 000000005E4C: 7E8E03B2
	s_branch label_07BA                                        // 000000005E50: BF82001C

0000000000005e54 <label_079E>:
	s_mov_b32 s60, 0x80                                        // 000000005E54: BEBC00FF 00000080
	v_and_b32_e32 v32, 15, v0                                  // 000000005E5C: 2640008F
	v_add_u32_e64 v32, v32, s60                                // 000000005E60: D1340020 00007920
	v_mul_i32_i24_e64 v33, s46, 16                             // 000000005E68: D1060021 0001202E
	v_add_u32_e32 v32, v32, v33                                // 000000005E70: 68404320
	v_cmp_lt_u32_e64 s[60:61], v32, s101                       // 000000005E74: D0C9003C 0000CB20
	s_nop 1                                                    // 000000005E7C: BF800001
	v_cndmask_b32_e64 v60, v178, v60, s[60:61]                 // 000000005E80: D100003C 00F279B2
	v_cndmask_b32_e64 v72, v178, v72, s[60:61]                 // 000000005E88: D1000048 00F291B2
	v_cndmask_b32_e64 v61, v178, v61, s[60:61]                 // 000000005E90: D100003D 00F27BB2
	v_cndmask_b32_e64 v73, v178, v73, s[60:61]                 // 000000005E98: D1000049 00F293B2
	v_cndmask_b32_e64 v62, v178, v62, s[60:61]                 // 000000005EA0: D100003E 00F27DB2
	v_cndmask_b32_e64 v74, v178, v74, s[60:61]                 // 000000005EA8: D100004A 00F295B2
	v_cndmask_b32_e64 v63, v178, v63, s[60:61]                 // 000000005EB0: D100003F 00F27FB2
	v_cndmask_b32_e64 v75, v178, v75, s[60:61]                 // 000000005EB8: D100004B 00F297B2
	s_branch label_07C3                                        // 000000005EC0: BF820009

0000000000005ec4 <label_07BA>:
	v_mov_b32_e32 v60, v178                                    // 000000005EC4: 7E7803B2
	v_mov_b32_e32 v72, v178                                    // 000000005EC8: 7E9003B2
	v_mov_b32_e32 v61, v178                                    // 000000005ECC: 7E7A03B2
	v_mov_b32_e32 v73, v178                                    // 000000005ED0: 7E9203B2
	v_mov_b32_e32 v62, v178                                    // 000000005ED4: 7E7C03B2
	v_mov_b32_e32 v74, v178                                    // 000000005ED8: 7E9403B2
	v_mov_b32_e32 v63, v178                                    // 000000005EDC: 7E7E03B2
	v_mov_b32_e32 v75, v178                                    // 000000005EE0: 7E9603B2
	s_branch label_07C3                                        // 000000005EE4: BF820000

0000000000005ee8 <label_07C3>:
	s_addk_i32 s74, 0x1                                        // 000000005EE8: B74A0001
	s_waitcnt lgkmcnt(8)                                       // 000000005EEC: BF8CC87F
	s_barrier                                                  // 000000005EF0: BF8A0000
	v_mfma_f32_16x16x16_bf16 v[76:79], v[108:109], a[72:73], 0 // 000000005EF4: D3E1004C 1202916C
	ds_read_b128 a[96:99], v14 offset:4352                     // 000000005EFC: DBFE1100 6000000E
	ds_read_b128 a[100:103], v14 offset:4864                   // 000000005F04: DBFE1300 6400000E
	v_mfma_f32_16x16x16_bf16 v[76:79], v[110:111], a[74:75], v[76:79]// 000000005F0C: D3E1004C 1532956E
	v_fma_f32 v52, v52, s57, -v140                             // 000000005F14: D1CB0034 86307334
	v_fma_f32 v53, v53, s57, -v141                             // 000000005F1C: D1CB0035 86347335
	v_fma_f32 v54, v54, s57, -v142                             // 000000005F24: D1CB0036 86387336
	v_fma_f32 v55, v55, s57, -v143                             // 000000005F2C: D1CB0037 863C7337
	v_fma_f32 v56, v56, s57, -v140                             // 000000005F34: D1CB0038 86307338
	v_fma_f32 v57, v57, s57, -v141                             // 000000005F3C: D1CB0039 86347339
	v_mfma_f32_16x16x16_bf16 v[76:79], v[112:113], a[76:77], v[76:79]// 000000005F44: D3E1004C 15329970
	v_fma_f32 v58, v58, s57, -v142                             // 000000005F4C: D1CB003A 8638733A
	v_fma_f32 v59, v59, s57, -v143                             // 000000005F54: D1CB003B 863C733B
	v_fma_f32 v60, v60, s57, -v140                             // 000000005F5C: D1CB003C 8630733C
	v_fma_f32 v61, v61, s57, -v141                             // 000000005F64: D1CB003D 8634733D
	v_fma_f32 v62, v62, s57, -v142                             // 000000005F6C: D1CB003E 8638733E
	v_fma_f32 v63, v63, s57, -v143                             // 000000005F74: D1CB003F 863C733F
	v_mfma_f32_16x16x16_bf16 v[76:79], v[114:115], a[78:79], v[76:79]// 000000005F7C: D3E1004C 15329D72
	v_fma_f32 v64, v64, s57, -v144                             // 000000005F84: D1CB0040 86407340
	v_fma_f32 v65, v65, s57, -v145                             // 000000005F8C: D1CB0041 86447341
	v_fma_f32 v66, v66, s57, -v146                             // 000000005F94: D1CB0042 86487342
	v_fma_f32 v67, v67, s57, -v147                             // 000000005F9C: D1CB0043 864C7343
	v_fma_f32 v68, v68, s57, -v144                             // 000000005FA4: D1CB0044 86407344
	v_fma_f32 v69, v69, s57, -v145                             // 000000005FAC: D1CB0045 86447345
	v_mfma_f32_16x16x16_bf16 v[80:83], v[108:109], a[80:81], 0 // 000000005FB4: D3E10050 1202A16C
	ds_read_b128 a[104:107], v14 offset:6528                   // 000000005FBC: DBFE1980 6800000E
	ds_read_b128 a[108:111], v14 offset:7040                   // 000000005FC4: DBFE1B80 6C00000E
	v_mfma_f32_16x16x16_bf16 v[80:83], v[110:111], a[82:83], v[80:83]// 000000005FCC: D3E10050 1542A56E
	v_fma_f32 v70, v70, s57, -v146                             // 000000005FD4: D1CB0046 86487346
	v_fma_f32 v71, v71, s57, -v147                             // 000000005FDC: D1CB0047 864C7347
	v_fma_f32 v72, v72, s57, -v144                             // 000000005FE4: D1CB0048 86407348
	v_fma_f32 v73, v73, s57, -v145                             // 000000005FEC: D1CB0049 86447349
	v_fma_f32 v74, v74, s57, -v146                             // 000000005FF4: D1CB004A 8648734A
	v_fma_f32 v75, v75, s57, -v147                             // 000000005FFC: D1CB004B 864C734B
	v_mfma_f32_16x16x16_bf16 v[80:83], v[112:113], a[84:85], v[80:83]// 000000006004: D3E10050 1542A970
	v_exp_f32_e32 v52, v52                                     // 00000000600C: 7E684134
	v_exp_f32_e32 v53, v53                                     // 000000006010: 7E6A4135
	v_mfma_f32_16x16x16_bf16 v[80:83], v[114:115], a[86:87], v[80:83]// 000000006014: D3E10050 1542AD72
	v_exp_f32_e32 v54, v54                                     // 00000000601C: 7E6C4136
	v_exp_f32_e32 v55, v55                                     // 000000006020: 7E6E4137
	v_mfma_f32_16x16x16_bf16 v[84:87], v[108:109], a[88:89], 0 // 000000006024: D3E10054 1202B16C
	ds_read_b64 v[156:157], v21 offset:31232                   // 00000000602C: D8EC7A00 9C000015
	ds_read_b64 v[158:159], v21 offset:33280                   // 000000006034: D8EC8200 9E000015
	v_mfma_f32_16x16x16_bf16 v[84:87], v[110:111], a[90:91], v[84:87]// 00000000603C: D3E10054 1552B56E
	v_exp_f32_e32 v56, v56                                     // 000000006044: 7E704138
	v_exp_f32_e32 v57, v57                                     // 000000006048: 7E724139
	v_mfma_f32_16x16x16_bf16 v[84:87], v[112:113], a[92:93], v[84:87]// 00000000604C: D3E10054 1552B970
	ds_read_b64 v[160:161], v21 offset:35328                   // 000000006054: D8EC8A00 A0000015
	ds_read_b64 v[162:163], v21 offset:37376                   // 00000000605C: D8EC9200 A2000015
	v_mfma_f32_16x16x16_bf16 v[84:87], v[114:115], a[94:95], v[84:87]// 000000006064: D3E10054 1552BD72
	v_exp_f32_e32 v58, v58                                     // 00000000606C: 7E74413A
	v_exp_f32_e32 v59, v59                                     // 000000006070: 7E76413B
	v_mfma_f32_16x16x16_bf16 v[88:91], v[116:117], a[72:73], 0 // 000000006074: D3E10058 12029174
	v_exp_f32_e32 v60, v60                                     // 00000000607C: 7E78413C
	v_exp_f32_e32 v61, v61                                     // 000000006080: 7E7A413D
	v_mfma_f32_16x16x16_bf16 v[88:91], v[118:119], a[74:75], v[88:91]// 000000006084: D3E10058 15629576
	v_exp_f32_e32 v62, v62                                     // 00000000608C: 7E7C413E
	v_exp_f32_e32 v63, v63                                     // 000000006090: 7E7E413F
	v_mfma_f32_16x16x16_bf16 v[88:91], v[120:121], a[76:77], v[88:91]// 000000006094: D3E10058 15629978
	v_exp_f32_e32 v64, v64                                     // 00000000609C: 7E804140
	v_exp_f32_e32 v65, v65                                     // 0000000060A0: 7E824141
	v_mfma_f32_16x16x16_bf16 v[88:91], v[122:123], a[78:79], v[88:91]// 0000000060A4: D3E10058 15629D7A
	v_exp_f32_e32 v66, v66                                     // 0000000060AC: 7E844142
	v_exp_f32_e32 v67, v67                                     // 0000000060B0: 7E864143
	v_mfma_f32_16x16x16_bf16 v[92:95], v[116:117], a[80:81], 0 // 0000000060B4: D3E1005C 1202A174
	v_exp_f32_e32 v68, v68                                     // 0000000060BC: 7E884144
	v_exp_f32_e32 v69, v69                                     // 0000000060C0: 7E8A4145
	v_mfma_f32_16x16x16_bf16 v[92:95], v[118:119], a[82:83], v[92:95]// 0000000060C4: D3E1005C 1572A576
	v_exp_f32_e32 v70, v70                                     // 0000000060CC: 7E8C4146
	v_exp_f32_e32 v71, v71                                     // 0000000060D0: 7E8E4147
	v_mfma_f32_16x16x16_bf16 v[92:95], v[120:121], a[84:85], v[92:95]// 0000000060D4: D3E1005C 1572A978
	v_exp_f32_e32 v72, v72                                     // 0000000060DC: 7E904148
	v_exp_f32_e32 v73, v73                                     // 0000000060E0: 7E924149
	v_mfma_f32_16x16x16_bf16 v[92:95], v[122:123], a[86:87], v[92:95]// 0000000060E4: D3E1005C 1572AD7A
	v_exp_f32_e32 v74, v74                                     // 0000000060EC: 7E94414A
	v_exp_f32_e32 v75, v75                                     // 0000000060F0: 7E96414B
	v_mfma_f32_16x16x16_bf16 v[96:99], v[116:117], a[88:89], 0 // 0000000060F4: D3E10060 1202B174
	v_perm_b32 v164, v53, v52, s64                             // 0000000060FC: D1ED00A4 01026935
	v_perm_b32 v165, v55, v54, s64                             // 000000006104: D1ED00A5 01026D37
	v_perm_b32 v166, v57, v56, s64                             // 00000000610C: D1ED00A6 01027139
	v_perm_b32 v167, v59, v58, s64                             // 000000006114: D1ED00A7 0102753B
	v_perm_b32 v168, v61, v60, s64                             // 00000000611C: D1ED00A8 0102793D
	v_perm_b32 v169, v63, v62, s64                             // 000000006124: D1ED00A9 01027D3F
	v_mfma_f32_16x16x16_bf16 v[96:99], v[118:119], a[90:91], v[96:99]// 00000000612C: D3E10060 1582B576
	v_perm_b32 v170, v65, v64, s64                             // 000000006134: D1ED00AA 01028141
	v_perm_b32 v171, v67, v66, s64                             // 00000000613C: D1ED00AB 01028543
	v_perm_b32 v172, v69, v68, s64                             // 000000006144: D1ED00AC 01028945
	v_perm_b32 v173, v71, v70, s64                             // 00000000614C: D1ED00AD 01028D47
	v_perm_b32 v174, v73, v72, s64                             // 000000006154: D1ED00AE 01029149
	v_perm_b32 v175, v75, v74, s64                             // 00000000615C: D1ED00AF 0102954B
	v_mfma_f32_16x16x16_bf16 v[96:99], v[120:121], a[92:93], v[96:99]// 000000006164: D3E10060 1582B978
	v_add_u32_e32 v6, s66, v6                                  // 00000000616C: 680C0C42
	v_add_u32_e32 v7, s66, v7                                  // 000000006170: 680E0E42
	v_add_u32_e32 v8, s66, v8                                  // 000000006174: 68101042
	v_add_u32_e32 v9, s66, v9                                  // 000000006178: 68121242
	v_mfma_f32_16x16x16_bf16 v[96:99], v[122:123], a[94:95], v[96:99]// 00000000617C: D3E10060 1582BD7A
	s_waitcnt lgkmcnt(0)                                       // 000000006184: BF8CC07F
	s_barrier                                                  // 000000006188: BF8A0000
	v_mfma_f32_16x16x16_bf16 v[180:183], v[124:125], v[164:165], v[180:183]// 00000000618C: D3E100B4 06D3497C
	v_subrev_f32_dpp v76, v176, v76 quad_perm:[0,0,0,0] row_mask:0xf bank_mask:0xf// 000000006194: 069898FA FF0000B0
	v_subrev_f32_dpp v77, v176, v77 quad_perm:[1,1,1,1] row_mask:0xf bank_mask:0xf// 00000000619C: 069A9AFA FF0055B0
	v_subrev_f32_dpp v78, v176, v78 quad_perm:[2,2,2,2] row_mask:0xf bank_mask:0xf// 0000000061A4: 069C9CFA FF00AAB0
	v_subrev_f32_dpp v79, v176, v79 quad_perm:[3,3,3,3] row_mask:0xf bank_mask:0xf// 0000000061AC: 069E9EFA FF00FFB0
	v_subrev_f32_dpp v80, v176, v80 quad_perm:[0,0,0,0] row_mask:0xf bank_mask:0xf// 0000000061B4: 06A0A0FA FF0000B0
	v_subrev_f32_dpp v81, v176, v81 quad_perm:[1,1,1,1] row_mask:0xf bank_mask:0xf// 0000000061BC: 06A2A2FA FF0055B0
	v_mfma_f32_16x16x16_bf16 v[184:187], v[126:127], v[164:165], v[184:187]// 0000000061C4: D3E100B8 06E3497E
	v_subrev_f32_dpp v82, v176, v82 quad_perm:[2,2,2,2] row_mask:0xf bank_mask:0xf// 0000000061CC: 06A4A4FA FF00AAB0
	v_subrev_f32_dpp v83, v176, v83 quad_perm:[3,3,3,3] row_mask:0xf bank_mask:0xf// 0000000061D4: 06A6A6FA FF00FFB0
	v_subrev_f32_dpp v84, v176, v84 quad_perm:[0,0,0,0] row_mask:0xf bank_mask:0xf// 0000000061DC: 06A8A8FA FF0000B0
	v_subrev_f32_dpp v85, v176, v85 quad_perm:[1,1,1,1] row_mask:0xf bank_mask:0xf// 0000000061E4: 06AAAAFA FF0055B0
	v_subrev_f32_dpp v86, v176, v86 quad_perm:[2,2,2,2] row_mask:0xf bank_mask:0xf// 0000000061EC: 06ACACFA FF00AAB0
	v_subrev_f32_dpp v87, v176, v87 quad_perm:[3,3,3,3] row_mask:0xf bank_mask:0xf// 0000000061F4: 06AEAEFA FF00FFB0
	v_mfma_f32_16x16x16_bf16 v[188:191], v[128:129], v[164:165], v[188:191]// 0000000061FC: D3E100BC 06F34980
	v_mul_f32_e32 v76, v52, v76                                // 000000006204: 0A989934
	v_mul_f32_e32 v77, v53, v77                                // 000000006208: 0A9A9B35
	v_mul_f32_e32 v78, v54, v78                                // 00000000620C: 0A9C9D36
	v_mul_f32_e32 v79, v55, v79                                // 000000006210: 0A9E9F37
	v_mul_f32_e32 v80, v56, v80                                // 000000006214: 0AA0A138
	v_mul_f32_e32 v81, v57, v81                                // 000000006218: 0AA2A339
	v_mfma_f32_16x16x16_bf16 v[192:195], v[130:131], v[164:165], v[192:195]// 00000000621C: D3E100C0 07034982
	v_mul_f32_e32 v82, v58, v82                                // 000000006224: 0AA4A53A
	v_mul_f32_e32 v83, v59, v83                                // 000000006228: 0AA6A73B
	v_mul_f32_e32 v84, v60, v84                                // 00000000622C: 0AA8A93C
	v_mul_f32_e32 v85, v61, v85                                // 000000006230: 0AAAAB3D
	v_mul_f32_e32 v86, v62, v86                                // 000000006234: 0AACAD3E
	v_mul_f32_e32 v87, v63, v87                                // 000000006238: 0AAEAF3F
	v_mfma_f32_16x16x16_bf16 v[196:199], v[124:125], v[166:167], v[196:199]// 00000000623C: D3E100C4 07134D7C
	v_perm_b32 v76, v77, v76, s64                              // 000000006244: D1ED004C 0102994D
	v_perm_b32 v77, v79, v78, s64                              // 00000000624C: D1ED004D 01029D4F
	v_perm_b32 v78, v81, v80, s64                              // 000000006254: D1ED004E 0102A151
	v_perm_b32 v79, v83, v82, s64                              // 00000000625C: D1ED004F 0102A553
	v_perm_b32 v80, v85, v84, s64                              // 000000006264: D1ED0050 0102A955
	v_perm_b32 v81, v87, v86, s64                              // 00000000626C: D1ED0051 0102AD57
	v_mfma_f32_16x16x16_bf16 v[200:203], v[126:127], v[166:167], v[200:203]// 000000006274: D3E100C8 07234D7E
	v_mov_b32_dpp v18, v76 quad_perm:[1,0,3,2] row_mask:0xf bank_mask:0xf// 00000000627C: 7E2402FA FF00B14C
	v_perm_b32 v52, v18, v76, v17                              // 000000006284: D1ED0034 04469912
	v_mov_b32_dpp v18, v77 quad_perm:[1,0,3,2] row_mask:0xf bank_mask:0xf// 00000000628C: 7E2402FA FF00B14D
	v_perm_b32 v53, v18, v77, v17                              // 000000006294: D1ED0035 04469B12
	v_mov_b32_dpp v18, v78 quad_perm:[1,0,3,2] row_mask:0xf bank_mask:0xf// 00000000629C: 7E2402FA FF00B14E
	v_perm_b32 v54, v18, v78, v17                              // 0000000062A4: D1ED0036 04469D12
	v_mfma_f32_16x16x16_bf16 v[204:207], v[128:129], v[166:167], v[204:207]// 0000000062AC: D3E100CC 07334D80
	v_mov_b32_dpp v18, v79 quad_perm:[1,0,3,2] row_mask:0xf bank_mask:0xf// 0000000062B4: 7E2402FA FF00B14F
	v_perm_b32 v55, v18, v79, v17                              // 0000000062BC: D1ED0037 04469F12
	v_mov_b32_dpp v18, v80 quad_perm:[1,0,3,2] row_mask:0xf bank_mask:0xf// 0000000062C4: 7E2402FA FF00B150
	v_perm_b32 v56, v18, v80, v17                              // 0000000062CC: D1ED0038 0446A112
	v_mov_b32_dpp v18, v81 quad_perm:[1,0,3,2] row_mask:0xf bank_mask:0xf// 0000000062D4: 7E2402FA FF00B151
	v_perm_b32 v57, v18, v81, v17                              // 0000000062DC: D1ED0039 0446A312
	v_mfma_f32_16x16x16_bf16 v[208:211], v[130:131], v[166:167], v[208:211]// 0000000062E4: D3E100D0 07434D82
	ds_write_b32 v20, v52 offset:17408                         // 0000000062EC: D81A4400 00003414
	ds_write_b32 v20, v53 offset:17952                         // 0000000062F4: D81A4620 00003514
	v_mfma_f32_16x16x16_bf16 v[212:215], v[124:125], v[168:169], v[212:215]// 0000000062FC: D3E100D4 0753517C
	v_subrev_f32_dpp v88, v177, v88 quad_perm:[0,0,0,0] row_mask:0xf bank_mask:0xf// 000000006304: 06B0B0FA FF0000B1
	v_subrev_f32_dpp v89, v177, v89 quad_perm:[1,1,1,1] row_mask:0xf bank_mask:0xf// 00000000630C: 06B2B2FA FF0055B1
	v_subrev_f32_dpp v90, v177, v90 quad_perm:[2,2,2,2] row_mask:0xf bank_mask:0xf// 000000006314: 06B4B4FA FF00AAB1
	v_subrev_f32_dpp v91, v177, v91 quad_perm:[3,3,3,3] row_mask:0xf bank_mask:0xf// 00000000631C: 06B6B6FA FF00FFB1
	v_subrev_f32_dpp v92, v177, v92 quad_perm:[0,0,0,0] row_mask:0xf bank_mask:0xf// 000000006324: 06B8B8FA FF0000B1
	v_subrev_f32_dpp v93, v177, v93 quad_perm:[1,1,1,1] row_mask:0xf bank_mask:0xf// 00000000632C: 06BABAFA FF0055B1
	v_mfma_f32_16x16x16_bf16 v[216:219], v[126:127], v[168:169], v[216:219]// 000000006334: D3E100D8 0763517E
	ds_write_b32 v20, v54 offset:19712                         // 00000000633C: D81A4D00 00003614
	ds_write_b32 v20, v55 offset:20256                         // 000000006344: D81A4F20 00003714
	v_mfma_f32_16x16x16_bf16 v[220:223], v[128:129], v[168:169], v[220:223]// 00000000634C: D3E100DC 07735180
	v_subrev_f32_dpp v94, v177, v94 quad_perm:[2,2,2,2] row_mask:0xf bank_mask:0xf// 000000006354: 06BCBCFA FF00AAB1
	v_subrev_f32_dpp v95, v177, v95 quad_perm:[3,3,3,3] row_mask:0xf bank_mask:0xf// 00000000635C: 06BEBEFA FF00FFB1
	v_subrev_f32_dpp v96, v177, v96 quad_perm:[0,0,0,0] row_mask:0xf bank_mask:0xf// 000000006364: 06C0C0FA FF0000B1
	v_subrev_f32_dpp v97, v177, v97 quad_perm:[1,1,1,1] row_mask:0xf bank_mask:0xf// 00000000636C: 06C2C2FA FF0055B1
	v_subrev_f32_dpp v98, v177, v98 quad_perm:[2,2,2,2] row_mask:0xf bank_mask:0xf// 000000006374: 06C4C4FA FF00AAB1
	v_subrev_f32_dpp v99, v177, v99 quad_perm:[3,3,3,3] row_mask:0xf bank_mask:0xf// 00000000637C: 06C6C6FA FF00FFB1
	v_mfma_f32_16x16x16_bf16 v[224:227], v[130:131], v[168:169], v[224:227]// 000000006384: D3E100E0 07835182
	ds_write_b32 v20, v56 offset:22016                         // 00000000638C: D81A5600 00003814
	ds_write_b32 v20, v57 offset:22560                         // 000000006394: D81A5820 00003914
	v_mfma_f32_16x16x16_bf16 v[180:183], v[132:133], v[170:171], v[180:183]// 00000000639C: D3E100B4 06D35584
	v_mul_f32_e32 v88, v64, v88                                // 0000000063A4: 0AB0B140
	v_mul_f32_e32 v89, v65, v89                                // 0000000063A8: 0AB2B341
	v_mul_f32_e32 v90, v66, v90                                // 0000000063AC: 0AB4B542
	v_mul_f32_e32 v91, v67, v91                                // 0000000063B0: 0AB6B743
	v_mul_f32_e32 v92, v68, v92                                // 0000000063B4: 0AB8B944
	v_mul_f32_e32 v93, v69, v93                                // 0000000063B8: 0ABABB45
	v_mfma_f32_16x16x16_bf16 v[184:187], v[134:135], v[170:171], v[184:187]// 0000000063BC: D3E100B8 06E35586
	v_mul_f32_e32 v94, v70, v94                                // 0000000063C4: 0ABCBD46
	v_mul_f32_e32 v95, v71, v95                                // 0000000063C8: 0ABEBF47
	v_mul_f32_e32 v96, v72, v96                                // 0000000063CC: 0AC0C148
	v_mul_f32_e32 v97, v73, v97                                // 0000000063D0: 0AC2C349
	v_mul_f32_e32 v98, v74, v98                                // 0000000063D4: 0AC4C54A
	v_mul_f32_e32 v99, v75, v99                                // 0000000063D8: 0AC6C74B
	v_mfma_f32_16x16x16_bf16 v[188:191], v[136:137], v[170:171], v[188:191]// 0000000063DC: D3E100BC 06F35588
	v_perm_b32 v82, v89, v88, s64                              // 0000000063E4: D1ED0052 0102B159
	v_perm_b32 v83, v91, v90, s64                              // 0000000063EC: D1ED0053 0102B55B
	v_perm_b32 v84, v93, v92, s64                              // 0000000063F4: D1ED0054 0102B95D
	v_perm_b32 v85, v95, v94, s64                              // 0000000063FC: D1ED0055 0102BD5F
	v_perm_b32 v86, v97, v96, s64                              // 000000006404: D1ED0056 0102C161
	v_perm_b32 v87, v99, v98, s64                              // 00000000640C: D1ED0057 0102C563
	v_mfma_f32_16x16x16_bf16 v[192:195], v[138:139], v[170:171], v[192:195]// 000000006414: D3E100C0 0703558A
	v_mov_b32_dpp v18, v82 quad_perm:[1,0,3,2] row_mask:0xf bank_mask:0xf// 00000000641C: 7E2402FA FF00B152
	v_perm_b32 v58, v18, v82, v17                              // 000000006424: D1ED003A 0446A512
	v_mov_b32_dpp v18, v83 quad_perm:[1,0,3,2] row_mask:0xf bank_mask:0xf// 00000000642C: 7E2402FA FF00B153
	v_perm_b32 v59, v18, v83, v17                              // 000000006434: D1ED003B 0446A712
	v_mov_b32_dpp v18, v84 quad_perm:[1,0,3,2] row_mask:0xf bank_mask:0xf// 00000000643C: 7E2402FA FF00B154
	v_perm_b32 v60, v18, v84, v17                              // 000000006444: D1ED003C 0446A912
	v_mfma_f32_16x16x16_bf16 v[196:199], v[132:133], v[172:173], v[196:199]// 00000000644C: D3E100C4 07135984
	v_mov_b32_dpp v18, v85 quad_perm:[1,0,3,2] row_mask:0xf bank_mask:0xf// 000000006454: 7E2402FA FF00B155
	v_perm_b32 v61, v18, v85, v17                              // 00000000645C: D1ED003D 0446AB12
	v_mov_b32_dpp v18, v86 quad_perm:[1,0,3,2] row_mask:0xf bank_mask:0xf// 000000006464: 7E2402FA FF00B156
	v_perm_b32 v62, v18, v86, v17                              // 00000000646C: D1ED003E 0446AD12
	v_mov_b32_dpp v18, v87 quad_perm:[1,0,3,2] row_mask:0xf bank_mask:0xf// 000000006474: 7E2402FA FF00B157
	v_perm_b32 v63, v18, v87, v17                              // 00000000647C: D1ED003F 0446AF12
	v_mfma_f32_16x16x16_bf16 v[200:203], v[134:135], v[172:173], v[200:203]// 000000006484: D3E100C8 07235986
	ds_write_b32 v20, v58 offset:24320                         // 00000000648C: D81A5F00 00003A14
	ds_write_b32 v20, v59 offset:24864                         // 000000006494: D81A6120 00003B14
	v_mfma_f32_16x16x16_bf16 v[204:207], v[136:137], v[172:173], v[204:207]// 00000000649C: D3E100CC 07335988
	v_mfma_f32_16x16x16_bf16 v[208:211], v[138:139], v[172:173], v[208:211]// 0000000064A4: D3E100D0 0743598A
	ds_write_b32 v20, v60 offset:26624                         // 0000000064AC: D81A6800 00003C14
	ds_write_b32 v20, v61 offset:27168                         // 0000000064B4: D81A6A20 00003D14
	ds_write_b32 v20, v62 offset:28928                         // 0000000064BC: D81A7100 00003E14
	ds_write_b32 v20, v63 offset:29472                         // 0000000064C4: D81A7320 00003F14
	v_mfma_f32_16x16x16_bf16 v[212:215], v[132:133], v[174:175], v[212:215]// 0000000064CC: D3E100D4 07535D84
	v_mfma_f32_16x16x16_bf16 v[216:219], v[134:135], v[174:175], v[216:219]// 0000000064D4: D3E100D8 07635D86
	ds_write_b32 v15, v100 offset:4352                         // 0000000064DC: D81A1100 0000640F
	ds_write_b32 v15, v101 offset:5408                         // 0000000064E4: D81A1520 0000650F
	v_mfma_f32_16x16x16_bf16 v[220:223], v[136:137], v[174:175], v[220:223]// 0000000064EC: D3E100DC 07735D88
	s_nop 0                                                    // 0000000064F4: BF800000
	s_nop 0                                                    // 0000000064F8: BF800000
	s_nop 0                                                    // 0000000064FC: BF800000
	v_mfma_f32_16x16x16_bf16 v[224:227], v[138:139], v[174:175], v[224:227]// 000000006500: D3E100E0 07835D8A
	ds_write_b32 v15, v102 offset:6528                         // 000000006508: D81A1980 0000660F
	ds_write_b32 v15, v103 offset:7584                         // 000000006510: D81A1DA0 0000670F
	s_barrier                                                  // 000000006518: BF8A0000
	v_mfma_f32_16x16x16_bf16 a[112:115], a[96:97], v[76:77], a[112:115]// 00000000651C: D3E18070 0DC29960
	buffer_atomic_add_f32 v156, v6, s[32:35], 0 idxen          // 000000006524: E1342000 80089C06
	v_mfma_f32_16x16x16_bf16 a[116:119], a[98:99], v[76:77], a[116:119]// 00000000652C: D3E18074 0DD29962
	ds_read_b32 v140, v23 offset:39936                         // 000000006534: D86C9C00 8C000017
	ds_read_b32 v144, v23 offset:40000                         // 00000000653C: D86C9C40 90000017
	ds_read_b32 v176, v23 offset:40192                         // 000000006544: D86C9D00 B0000017
	ds_read_b32 v177, v23 offset:40256                         // 00000000654C: D86C9D40 B1000017
	v_mfma_f32_16x16x16_bf16 a[120:123], a[100:101], v[76:77], a[120:123]// 000000006554: D3E18078 0DE29964
	s_waitcnt lgkmcnt(8)                                       // 00000000655C: BF8CC87F
	s_barrier                                                  // 000000006560: BF8A0000
	v_mfma_f32_16x16x16_bf16 a[124:127], a[102:103], v[76:77], a[124:127]// 000000006564: D3E1807C 0DF29966
	ds_read_b128 v[52:55], v19 offset:17408                    // 00000000656C: D9FE4400 34000013
	v_mfma_f32_16x16x16_bf16 a[128:131], a[96:97], v[78:79], a[128:131]// 000000006574: D3E18080 0E029D60
	v_mfma_f32_16x16x16_bf16 a[132:135], a[98:99], v[78:79], a[132:135]// 00000000657C: D3E18084 0E129D62
	ds_read_b128 v[56:59], v19 offset:18560                    // 000000006584: D9FE4880 38000013
	v_mfma_f32_16x16x16_bf16 a[136:139], a[100:101], v[78:79], a[136:139]// 00000000658C: D3E18088 0E229D64
	buffer_atomic_add_f32 v157, v7, s[32:35], 0 idxen          // 000000006594: E1342000 80089D07
	v_mfma_f32_16x16x16_bf16 a[140:143], a[102:103], v[78:79], a[140:143]// 00000000659C: D3E1808C 0E329D66
	ds_read_b128 v[60:63], v19 offset:19712                    // 0000000065A4: D9FE4D00 3C000013
	v_mfma_f32_16x16x16_bf16 a[144:147], a[96:97], v[80:81], a[144:147]// 0000000065AC: D3E18090 0E42A160
	v_mfma_f32_16x16x16_bf16 a[148:151], a[98:99], v[80:81], a[148:151]// 0000000065B4: D3E18094 0E52A162
	ds_read_b128 v[64:67], v19 offset:20864                    // 0000000065BC: D9FE5180 40000013
	v_mfma_f32_16x16x16_bf16 a[152:155], a[100:101], v[80:81], a[152:155]// 0000000065C4: D3E18098 0E62A164
	v_mfma_f32_16x16x16_bf16 a[156:159], a[102:103], v[80:81], a[156:159]// 0000000065CC: D3E1809C 0E72A166
	ds_read_b128 v[68:71], v19 offset:22016                    // 0000000065D4: D9FE5600 44000013
	v_mfma_f32_16x16x16_bf16 a[112:115], a[104:105], v[82:83], a[112:115]// 0000000065DC: D3E18070 0DC2A568
	buffer_atomic_add_f32 v158, v6, s[32:35], 0 idxen offset:128// 0000000065E4: E1342080 80089E06
	v_mfma_f32_16x16x16_bf16 a[116:119], a[106:107], v[82:83], a[116:119]// 0000000065EC: D3E18074 0DD2A56A
	ds_read_b128 v[72:75], v19 offset:23168                    // 0000000065F4: D9FE5A80 48000013
	v_mfma_f32_16x16x16_bf16 a[120:123], a[108:109], v[82:83], a[120:123]// 0000000065FC: D3E18078 0DE2A56C
	v_mfma_f32_16x16x16_bf16 a[124:127], a[110:111], v[82:83], a[124:127]// 000000006604: D3E1807C 0DF2A56E
	ds_write_b32 v15, v104 offset:13056                        // 00000000660C: D81A3300 0000680F
	v_mfma_f32_16x16x16_bf16 a[128:131], a[104:105], v[84:85], a[128:131]// 000000006614: D3E18080 0E02A968
	v_mfma_f32_16x16x16_bf16 a[132:135], a[106:107], v[84:85], a[132:135]// 00000000661C: D3E18084 0E12A96A
	ds_write_b32 v15, v105 offset:14112                        // 000000006624: D81A3720 0000690F
	v_mfma_f32_16x16x16_bf16 a[136:139], a[108:109], v[84:85], a[136:139]// 00000000662C: D3E18088 0E22A96C
	buffer_atomic_add_f32 v159, v7, s[32:35], 0 idxen offset:128// 000000006634: E1342080 80089F07
	v_mfma_f32_16x16x16_bf16 a[140:143], a[110:111], v[84:85], a[140:143]// 00000000663C: D3E1808C 0E32A96E
	ds_write_b32 v15, v106 offset:15232                        // 000000006644: D81A3B80 00006A0F
	v_mfma_f32_16x16x16_bf16 a[144:147], a[104:105], v[86:87], a[144:147]// 00000000664C: D3E18090 0E42AD68
	v_mfma_f32_16x16x16_bf16 a[148:151], a[106:107], v[86:87], a[148:151]// 000000006654: D3E18094 0E52AD6A
	ds_write_b32 v15, v107 offset:16288                        // 00000000665C: D81A3FA0 00006B0F
	v_mfma_f32_16x16x16_bf16 a[152:155], a[108:109], v[86:87], a[152:155]// 000000006664: D3E18098 0E62AD6C
	v_mfma_f32_16x16x16_bf16 a[156:159], a[110:111], v[86:87], a[156:159]// 00000000666C: D3E1809C 0E72AD6E
	s_waitcnt vmcnt(8) lgkmcnt(4)                              // 000000006674: BF8C0478
	s_barrier                                                  // 000000006678: BF8A0000
	v_mfma_f32_16x16x16_bf16 v[148:151], v[52:53], a[24:25], 0 // 00000000667C: D3E10094 12023134
	v_mul_f32_e32 v140, s48, v140                              // 000000006684: 0B191830
	v_mul_f32_e32 v144, s48, v144                              // 000000006688: 0B212030
	s_nop 0                                                    // 00000000668C: BF800000
	v_mfma_f32_16x16x16_bf16 v[148:151], v[54:55], a[28:29], v[148:151]// 000000006690: D3E10094 16523936
	ds_read_b128 a[96:99], v12                                 // 000000006698: DBFE0000 6000000C
	buffer_load_dword v40, v1, s[8:11], 0 idxen                // 0000000066A0: E0502000 80022801
	v_mfma_f32_16x16x16_bf16 v[148:151], v[56:57], a[32:33], v[148:151]// 0000000066A8: D3E10094 16524138
	v_mfma_f32_16x16x16_bf16 v[148:151], v[58:59], a[36:37], v[148:151]// 0000000066B0: D3E10094 1652493A
	ds_read_b128 a[100:103], v12 offset:512                    // 0000000066B8: DBFE0200 6400000C
	buffer_load_dword v41, v2, s[8:11], 0 idxen                // 0000000066C0: E0502000 80022902
	v_mfma_f32_16x16x16_bf16 v[148:151], v[60:61], a[40:41], v[148:151]// 0000000066C8: D3E10094 1652513C
	v_perm_b32 v100, v37, v36, s63                             // 0000000066D0: D1ED0064 00FE4925
	v_perm_b32 v101, v37, v36, s64                             // 0000000066D8: D1ED0065 01024925
	v_mfma_f32_16x16x16_bf16 v[148:151], v[62:63], a[44:45], v[148:151]// 0000000066E0: D3E10094 1652593E
	ds_read_b128 a[104:107], v12 offset:2176                   // 0000000066E8: DBFE0880 6800000C
	buffer_load_dword v42, v3, s[8:11], 0 idxen                // 0000000066F0: E0502000 80022A03
	v_mfma_f32_16x16x16_bf16 v[148:151], v[64:65], a[48:49], v[148:151]// 0000000066F8: D3E10094 16526140
	v_perm_b32 v102, v39, v38, s63                             // 000000006700: D1ED0066 00FE4D27
	v_perm_b32 v103, v39, v38, s64                             // 000000006708: D1ED0067 01024D27
	v_mfma_f32_16x16x16_bf16 v[148:151], v[66:67], a[52:53], v[148:151]// 000000006710: D3E10094 16526942
	ds_read_b128 a[108:111], v12 offset:2688                   // 000000006718: DBFE0A80 6C00000C
	buffer_load_dword v43, v4, s[8:11], 0 idxen                // 000000006720: E0502000 80022B04
	v_mfma_f32_16x16x16_bf16 v[148:151], v[68:69], a[56:57], v[148:151]// 000000006728: D3E10094 16527144
	v_perm_b32 v104, v45, v44, s63                             // 000000006730: D1ED0068 00FE592D
	v_perm_b32 v105, v45, v44, s64                             // 000000006738: D1ED0069 0102592D
	v_mfma_f32_16x16x16_bf16 v[148:151], v[70:71], a[60:61], v[148:151]// 000000006740: D3E10094 16527946
	ds_read_b128 v[108:111], v12 offset:8704                   // 000000006748: D9FE2200 6C00000C
	buffer_load_dword v48, v232, s[20:23], 0 idxen             // 000000006750: E0502000 800530E8
	v_mfma_f32_16x16x16_bf16 v[148:151], v[72:73], a[64:65], v[148:151]// 000000006758: D3E10094 16528148
	v_perm_b32 v106, v47, v46, s63                             // 000000006760: D1ED006A 00FE5D2F
	v_perm_b32 v107, v47, v46, s64                             // 000000006768: D1ED006B 01025D2F
	v_mfma_f32_16x16x16_bf16 v[148:151], v[74:75], a[68:69], v[148:151]// 000000006770: D3E10094 1652894A
	ds_read_b128 v[112:115], v12 offset:9216                   // 000000006778: D9FE2400 7000000C
	buffer_load_dword v49, v233, s[20:23], 0 idxen             // 000000006780: E0502000 800531E9
	v_mfma_f32_16x16x16_bf16 v[152:155], v[52:53], a[26:27], 0 // 000000006788: D3E10098 12023534
	v_mov_b32_dpp v143, v140 quad_perm:[3,3,3,3] row_mask:0xf bank_mask:0xf// 000000006790: 7F1E02FA FF00FF8C
	v_mov_b32_dpp v142, v140 quad_perm:[2,2,2,2] row_mask:0xf bank_mask:0xf// 000000006798: 7F1C02FA FF00AA8C
	v_mov_b32_dpp v141, v140 quad_perm:[1,1,1,1] row_mask:0xf bank_mask:0xf// 0000000067A0: 7F1A02FA FF00558C
	v_mov_b32_dpp v140, v140 quad_perm:[0,0,0,0] row_mask:0xf bank_mask:0xf// 0000000067A8: 7F1802FA FF00008C
	v_mfma_f32_16x16x16_bf16 v[152:155], v[54:55], a[30:31], v[152:155]// 0000000067B0: D3E10098 16623D36
	ds_read_b128 v[116:119], v12 offset:10880                  // 0000000067B8: D9FE2A80 7400000C
	buffer_load_dword v50, v234, s[20:23], 0 idxen             // 0000000067C0: E0502000 800532EA
	v_mfma_f32_16x16x16_bf16 v[152:155], v[56:57], a[34:35], v[152:155]// 0000000067C8: D3E10098 16624538
	v_mov_b32_dpp v147, v144 quad_perm:[3,3,3,3] row_mask:0xf bank_mask:0xf// 0000000067D0: 7F2602FA FF00FF90
	v_mov_b32_dpp v146, v144 quad_perm:[2,2,2,2] row_mask:0xf bank_mask:0xf// 0000000067D8: 7F2402FA FF00AA90
	v_mov_b32_dpp v145, v144 quad_perm:[1,1,1,1] row_mask:0xf bank_mask:0xf// 0000000067E0: 7F2202FA FF005590
	v_mov_b32_dpp v144, v144 quad_perm:[0,0,0,0] row_mask:0xf bank_mask:0xf// 0000000067E8: 7F2002FA FF000090
	s_add_u32 s60, 0x80, s59                                   // 0000000067F0: 803C3BFF 00000080
	v_mfma_f32_16x16x16_bf16 v[152:155], v[58:59], a[38:39], v[152:155]// 0000000067F8: D3E10098 16624D3A
	ds_read_b128 v[120:123], v12 offset:11392                  // 000000006800: D9FE2C80 7800000C
	buffer_load_dword v51, v235, s[20:23], 0 idxen             // 000000006808: E0502000 800533EB
	v_mfma_f32_16x16x16_bf16 v[152:155], v[60:61], a[42:43], v[152:155]// 000000006810: D3E10098 1662553C
	s_cmp_lt_u32 s60, s58                                      // 000000006818: BF0A3A3C
	s_cselect_b32 s68, s68, 0                                  // 00000000681C: 85448044
	s_cselect_b32 s99, s99, 0                                  // 000000006820: 85638063
	s_cselect_b32 s69, s69, 0                                  // 000000006824: 85458045
	v_mfma_f32_16x16x16_bf16 v[152:155], v[62:63], a[46:47], v[152:155]// 000000006828: D3E10098 16625D3E
	buffer_load_dword v11, s[24:27], 0 idxen lds               // 000000006830: E0512000 8006000B
	v_mfma_f32_16x16x16_bf16 v[152:155], v[64:65], a[50:51], v[152:155]// 000000006838: D3E10098 16626540
	v_add_u32_e32 v1, s68, v1                                  // 000000006840: 68020244
	v_add_u32_e32 v2, s68, v2                                  // 000000006844: 68040444
	;; [unrolled: 1-line block ×3, first 2 shown]
	v_add_u32_e32 v4, s68, v4                                  // 00000000684C: 68080844
	v_mfma_f32_16x16x16_bf16 v[152:155], v[66:67], a[54:55], v[152:155]// 000000006850: D3E10098 16626D42
	v_add_u32_e32 v232, s99, v232                              // 000000006858: 69D1D063
	v_add_u32_e32 v233, s99, v233                              // 00000000685C: 69D3D263
	v_add_u32_e32 v234, s99, v234                              // 000000006860: 69D5D463
	v_add_u32_e32 v235, s99, v235                              // 000000006864: 69D7D663
	v_mfma_f32_16x16x16_bf16 v[152:155], v[68:69], a[58:59], v[152:155]// 000000006868: D3E10098 16627544
	s_mov_b32 m0, s80                                          // 000000006870: BEFC0050
	v_add_u32_e32 v11, s69, v11                                // 000000006874: 68161645
	v_mfma_f32_16x16x16_bf16 v[152:155], v[70:71], a[62:63], v[152:155]// 000000006878: D3E10098 16627D46
	s_cmp_ge_u32 s59, s73                                      // 000000006880: BF09493B
	s_cselect_b32 s66, s67, s66                                // 000000006884: 85424243
	v_mfma_f32_16x16x16_bf16 v[152:155], v[72:73], a[66:67], v[152:155]// 000000006888: D3E10098 16628548
	s_addk_i32 s59, 0x20                                       // 000000006890: B73B0020
	s_nop 0                                                    // 000000006894: BF800000
	s_cmp_lt_i32 s59, s58                                      // 000000006898: BF043A3B
	v_mfma_f32_16x16x16_bf16 v[152:155], v[74:75], a[70:71], v[152:155]// 00000000689C: D3E10098 16628D4A
	s_cbranch_scc0 label_0E01                                  // 0000000068A4: BF8403C5
	s_waitcnt lgkmcnt(0)                                       // 0000000068A8: BF8CC07F
	s_barrier                                                  // 0000000068AC: BF8A0000
	v_mfma_f32_16x16x16_bf16 v[52:55], a[96:97], a[0:1], 0     // 0000000068B0: D3E10034 1A020160
	ds_write_b32 v13, v44 offset:8704                          // 0000000068B8: D81A2200 00002C0D
	ds_write_b32 v13, v45 offset:9760                          // 0000000068C0: D81A2620 00002D0D
	v_mfma_f32_16x16x16_bf16 v[52:55], a[98:99], a[2:3], v[52:55]// 0000000068C8: D3E10034 1CD20562
	v_mul_f32_e32 v148, s47, v148                              // 0000000068D0: 0B29282F
	v_mul_f32_e32 v149, s47, v149                              // 0000000068D4: 0B2B2A2F
	v_mfma_f32_16x16x16_bf16 v[52:55], a[100:101], a[4:5], v[52:55]// 0000000068D8: D3E10034 1CD20964
	ds_write_b32 v13, v46 offset:10880                         // 0000000068E0: D81A2A80 00002E0D
	ds_write_b32 v13, v47 offset:11936                         // 0000000068E8: D81A2EA0 00002F0D
	v_mfma_f32_16x16x16_bf16 v[52:55], a[102:103], a[6:7], v[52:55]// 0000000068F0: D3E10034 1CD20D66
	v_mul_f32_e32 v150, s47, v150                              // 0000000068F8: 0B2D2C2F
	v_mul_f32_e32 v151, s47, v151                              // 0000000068FC: 0B2F2E2F
	v_mfma_f32_16x16x16_bf16 v[56:59], a[96:97], a[8:9], 0     // 000000006900: D3E10038 1A021160
	ds_write_b64 v22, v[148:149] offset:31232                  // 000000006908: D89A7A00 00009416
	v_mfma_f32_16x16x16_bf16 v[56:59], a[98:99], a[10:11], v[56:59]// 000000006910: D3E10038 1CE21562
	v_mul_f32_e32 v152, s47, v152                              // 000000006918: 0B31302F
	v_mul_f32_e32 v153, s47, v153                              // 00000000691C: 0B33322F
	v_mfma_f32_16x16x16_bf16 v[56:59], a[100:101], a[12:13], v[56:59]// 000000006920: D3E10038 1CE21964
	ds_write_b64 v22, v[150:151] offset:31744                  // 000000006928: D89A7C00 00009616
	v_mfma_f32_16x16x16_bf16 v[56:59], a[102:103], a[14:15], v[56:59]// 000000006930: D3E10038 1CE21D66
	v_mul_f32_e32 v154, s47, v154                              // 000000006938: 0B35342F
	v_mul_f32_e32 v155, s47, v155                              // 00000000693C: 0B37362F
	v_mfma_f32_16x16x16_bf16 v[60:63], a[96:97], a[16:17], 0   // 000000006940: D3E1003C 1A022160
	ds_write_b64 v22, v[152:153] offset:32256                  // 000000006948: D89A7E00 00009816
	v_mfma_f32_16x16x16_bf16 v[60:63], a[98:99], a[18:19], v[60:63]// 000000006950: D3E1003C 1CF22562
	buffer_atomic_add_f32 v160, v8, s[32:35], 0 idxen          // 000000006958: E1342000 8008A008
	v_mfma_f32_16x16x16_bf16 v[60:63], a[100:101], a[20:21], v[60:63]// 000000006960: D3E1003C 1CF22964
	ds_write_b64 v22, v[154:155] offset:32768                  // 000000006968: D89A8000 00009A16
	v_mfma_f32_16x16x16_bf16 v[60:63], a[102:103], a[22:23], v[60:63]// 000000006970: D3E1003C 1CF22D66
	v_mfma_f32_16x16x16_bf16 v[64:67], a[104:105], a[0:1], 0   // 000000006978: D3E10040 1A020168
	ds_read_b128 v[124:127], v14 offset:13056                  // 000000006980: D9FE3300 7C00000E
	ds_write_b32 v13, v36                                      // 000000006988: D81A0000 0000240D
	v_mfma_f32_16x16x16_bf16 v[64:67], a[106:107], a[2:3], v[64:67]// 000000006990: D3E10040 1D02056A
	buffer_atomic_add_f32 v161, v9, s[32:35], 0 idxen          // 000000006998: E1342000 8008A109
	v_mfma_f32_16x16x16_bf16 v[64:67], a[108:109], a[4:5], v[64:67]// 0000000069A0: D3E10040 1D02096C
	v_mfma_f32_16x16x16_bf16 v[64:67], a[110:111], a[6:7], v[64:67]// 0000000069A8: D3E10040 1D020D6E
	ds_read_b128 v[128:131], v14 offset:13568                  // 0000000069B0: D9FE3500 8000000E
	ds_write_b32 v13, v37 offset:1056                          // 0000000069B8: D81A0420 0000250D
	v_mfma_f32_16x16x16_bf16 v[68:71], a[104:105], a[8:9], 0   // 0000000069C0: D3E10044 1A021168
	buffer_atomic_add_f32 v162, v8, s[32:35], 0 idxen offset:128// 0000000069C8: E1342080 8008A208
	v_mfma_f32_16x16x16_bf16 v[68:71], a[106:107], a[10:11], v[68:71]// 0000000069D0: D3E10044 1D12156A
	v_mfma_f32_16x16x16_bf16 v[68:71], a[108:109], a[12:13], v[68:71]// 0000000069D8: D3E10044 1D12196C
	ds_read_b128 v[132:135], v14 offset:15232                  // 0000000069E0: D9FE3B80 8400000E
	ds_write_b32 v13, v38 offset:2176                          // 0000000069E8: D81A0880 0000260D
	v_mfma_f32_16x16x16_bf16 v[68:71], a[110:111], a[14:15], v[68:71]// 0000000069F0: D3E10044 1D121D6E
	v_mfma_f32_16x16x16_bf16 v[72:75], a[104:105], a[16:17], 0 // 0000000069F8: D3E10048 1A022168
	buffer_atomic_add_f32 v163, v9, s[32:35], 0 idxen offset:128// 000000006A00: E1342080 8008A309
	v_mfma_f32_16x16x16_bf16 v[72:75], a[106:107], a[18:19], v[72:75]// 000000006A08: D3E10048 1D22256A
	ds_read_b128 v[136:139], v14 offset:15744                  // 000000006A10: D9FE3D80 8800000E
	ds_write_b32 v13, v39 offset:3232                          // 000000006A18: D81A0CA0 0000270D
	v_mfma_f32_16x16x16_bf16 v[72:75], a[108:109], a[20:21], v[72:75]// 000000006A20: D3E10048 1D22296C
	v_mfma_f32_16x16x16_bf16 v[72:75], a[110:111], a[22:23], v[72:75]// 000000006A28: D3E10048 1D222D6E
	s_cmp_eq_i32 s94, 0                                        // 000000006A30: BF00805E
	s_cbranch_scc1 label_0B90                                  // 000000006A34: BF8500F0
	s_cmp_lt_i32 s74, 6                                        // 000000006A38: BF04864A
	s_cbranch_scc0 label_0B17                                  // 000000006A3C: BF84007E
	s_lshl_b32 s60, s74, 5                                     // 000000006A40: 8E3C854A
	s_lshl_b32 s61, 0, 4                                       // 000000006A44: 8E3D8480
	s_add_i32 s60, s60, s61                                    // 000000006A48: 813C3D3C
	v_sub_i32 v32, v236, s60                                   // 000000006A4C: D29D0020 000079EC
	s_mov_b32 s61, 0                                           // 000000006A54: BEBD0080
	v_add_i32 v33, v32, s61                                    // 000000006A58: D29C0021 00007B20
	v_cmp_gt_i32_e64 s[90:91], v33, 0                          // 000000006A60: D0C4005A 00010121
	v_cmp_gt_i32_e64 s[92:93], v33, 1                          // 000000006A68: D0C4005C 00010321
	v_cndmask_b32_e64 v52, v52, v178, s[90:91]                 // 000000006A70: D1000034 016B6534
	v_cndmask_b32_e64 v53, v53, v178, s[92:93]                 // 000000006A78: D1000035 01736535
	v_cmp_gt_i32_e64 s[90:91], v33, 2                          // 000000006A80: D0C4005A 00010521
	v_cmp_gt_i32_e64 s[92:93], v33, 3                          // 000000006A88: D0C4005C 00010721
	v_cndmask_b32_e64 v54, v54, v178, s[90:91]                 // 000000006A90: D1000036 016B6536
	v_cndmask_b32_e64 v55, v55, v178, s[92:93]                 // 000000006A98: D1000037 01736537
	s_mov_b32 s61, 64                                          // 000000006AA0: BEBD00C0
	v_add_i32 v33, v32, s61                                    // 000000006AA4: D29C0021 00007B20
	v_cmp_gt_i32_e64 s[90:91], v33, 0                          // 000000006AAC: D0C4005A 00010121
	v_cmp_gt_i32_e64 s[92:93], v33, 1                          // 000000006AB4: D0C4005C 00010321
	v_cndmask_b32_e64 v56, v56, v178, s[90:91]                 // 000000006ABC: D1000038 016B6538
	v_cndmask_b32_e64 v57, v57, v178, s[92:93]                 // 000000006AC4: D1000039 01736539
	v_cmp_gt_i32_e64 s[90:91], v33, 2                          // 000000006ACC: D0C4005A 00010521
	v_cmp_gt_i32_e64 s[92:93], v33, 3                          // 000000006AD4: D0C4005C 00010721
	v_cndmask_b32_e64 v58, v58, v178, s[90:91]                 // 000000006ADC: D100003A 016B653A
	v_cndmask_b32_e64 v59, v59, v178, s[92:93]                 // 000000006AE4: D100003B 0173653B
	s_mov_b32 s61, 0x80                                        // 000000006AEC: BEBD00FF 00000080
	v_add_i32 v33, v32, s61                                    // 000000006AF4: D29C0021 00007B20
	v_cmp_gt_i32_e64 s[90:91], v33, 0                          // 000000006AFC: D0C4005A 00010121
	v_cmp_gt_i32_e64 s[92:93], v33, 1                          // 000000006B04: D0C4005C 00010321
	v_cndmask_b32_e64 v60, v60, v178, s[90:91]                 // 000000006B0C: D100003C 016B653C
	v_cndmask_b32_e64 v61, v61, v178, s[92:93]                 // 000000006B14: D100003D 0173653D
	v_cmp_gt_i32_e64 s[90:91], v33, 2                          // 000000006B1C: D0C4005A 00010521
	v_cmp_gt_i32_e64 s[92:93], v33, 3                          // 000000006B24: D0C4005C 00010721
	v_cndmask_b32_e64 v62, v62, v178, s[90:91]                 // 000000006B2C: D100003E 016B653E
	v_cndmask_b32_e64 v63, v63, v178, s[92:93]                 // 000000006B34: D100003F 0173653F
	s_lshl_b32 s60, s74, 5                                     // 000000006B3C: 8E3C854A
	s_lshl_b32 s61, 1, 4                                       // 000000006B40: 8E3D8481
	s_add_i32 s60, s60, s61                                    // 000000006B44: 813C3D3C
	v_sub_i32 v32, v236, s60                                   // 000000006B48: D29D0020 000079EC
	s_mov_b32 s61, 0                                           // 000000006B50: BEBD0080
	v_add_i32 v33, v32, s61                                    // 000000006B54: D29C0021 00007B20
	v_cmp_gt_i32_e64 s[90:91], v33, 0                          // 000000006B5C: D0C4005A 00010121
	v_cmp_gt_i32_e64 s[92:93], v33, 1                          // 000000006B64: D0C4005C 00010321
	v_cndmask_b32_e64 v64, v64, v178, s[90:91]                 // 000000006B6C: D1000040 016B6540
	v_cndmask_b32_e64 v65, v65, v178, s[92:93]                 // 000000006B74: D1000041 01736541
	v_cmp_gt_i32_e64 s[90:91], v33, 2                          // 000000006B7C: D0C4005A 00010521
	v_cmp_gt_i32_e64 s[92:93], v33, 3                          // 000000006B84: D0C4005C 00010721
	v_cndmask_b32_e64 v66, v66, v178, s[90:91]                 // 000000006B8C: D1000042 016B6542
	v_cndmask_b32_e64 v67, v67, v178, s[92:93]                 // 000000006B94: D1000043 01736543
	s_mov_b32 s61, 64                                          // 000000006B9C: BEBD00C0
	v_add_i32 v33, v32, s61                                    // 000000006BA0: D29C0021 00007B20
	v_cmp_gt_i32_e64 s[90:91], v33, 0                          // 000000006BA8: D0C4005A 00010121
	v_cmp_gt_i32_e64 s[92:93], v33, 1                          // 000000006BB0: D0C4005C 00010321
	v_cndmask_b32_e64 v68, v68, v178, s[90:91]                 // 000000006BB8: D1000044 016B6544
	v_cndmask_b32_e64 v69, v69, v178, s[92:93]                 // 000000006BC0: D1000045 01736545
	v_cmp_gt_i32_e64 s[90:91], v33, 2                          // 000000006BC8: D0C4005A 00010521
	v_cmp_gt_i32_e64 s[92:93], v33, 3                          // 000000006BD0: D0C4005C 00010721
	v_cndmask_b32_e64 v70, v70, v178, s[90:91]                 // 000000006BD8: D1000046 016B6546
	v_cndmask_b32_e64 v71, v71, v178, s[92:93]                 // 000000006BE0: D1000047 01736547
	s_mov_b32 s61, 0x80                                        // 000000006BE8: BEBD00FF 00000080
	v_add_i32 v33, v32, s61                                    // 000000006BF0: D29C0021 00007B20
	v_cmp_gt_i32_e64 s[90:91], v33, 0                          // 000000006BF8: D0C4005A 00010121
	v_cmp_gt_i32_e64 s[92:93], v33, 1                          // 000000006C00: D0C4005C 00010321
	v_cndmask_b32_e64 v72, v72, v178, s[90:91]                 // 000000006C08: D1000048 016B6548
	v_cndmask_b32_e64 v73, v73, v178, s[92:93]                 // 000000006C10: D1000049 01736549
	v_cmp_gt_i32_e64 s[90:91], v33, 2                          // 000000006C18: D0C4005A 00010521
	v_cmp_gt_i32_e64 s[92:93], v33, 3                          // 000000006C20: D0C4005C 00010721
	v_cndmask_b32_e64 v74, v74, v178, s[90:91]                 // 000000006C28: D100004A 016B654A
	v_cndmask_b32_e64 v75, v75, v178, s[92:93]                 // 000000006C30: D100004B 0173654B

0000000000006c38 <label_0B17>:
	s_cmp_lt_i32 s101, 0xc0                                    // 000000006C38: BF04FF65 000000C0
	s_cbranch_scc0 label_0B90                                  // 000000006C40: BF84006D
	s_cmp_le_i32 s101, 64                                      // 000000006C44: BF05C065
	s_cbranch_scc1 label_0B23                                  // 000000006C48: BF850007
	s_cmp_le_i32 s101, 0x80                                    // 000000006C4C: BF05FF65 00000080
	s_cbranch_scc1 label_0B47                                  // 000000006C54: BF85001F
	s_cmp_lt_i32 s101, 0xc0                                    // 000000006C58: BF04FF65 000000C0
	s_cbranch_scc1 label_0B6B                                  // 000000006C60: BF850040
	s_branch label_0B90                                        // 000000006C64: BF820064

0000000000006c68 <label_0B23>:
	s_mov_b32 s60, 0                                           // 000000006C68: BEBC0080
	v_and_b32_e32 v32, 15, v0                                  // 000000006C6C: 2640008F
	v_add_u32_e64 v32, v32, s60                                // 000000006C70: D1340020 00007920
	v_mul_i32_i24_e64 v33, s46, 16                             // 000000006C78: D1060021 0001202E
	v_add_u32_e32 v32, v32, v33                                // 000000006C80: 68404320
	v_cmp_lt_u32_e64 s[60:61], v32, s101                       // 000000006C84: D0C9003C 0000CB20
	s_nop 1                                                    // 000000006C8C: BF800001
	v_cndmask_b32_e64 v52, v178, v52, s[60:61]                 // 000000006C90: D1000034 00F269B2
	v_cndmask_b32_e64 v64, v178, v64, s[60:61]                 // 000000006C98: D1000040 00F281B2
	v_cndmask_b32_e64 v53, v178, v53, s[60:61]                 // 000000006CA0: D1000035 00F26BB2
	v_cndmask_b32_e64 v65, v178, v65, s[60:61]                 // 000000006CA8: D1000041 00F283B2
	v_cndmask_b32_e64 v54, v178, v54, s[60:61]                 // 000000006CB0: D1000036 00F26DB2
	v_cndmask_b32_e64 v66, v178, v66, s[60:61]                 // 000000006CB8: D1000042 00F285B2
	v_cndmask_b32_e64 v55, v178, v55, s[60:61]                 // 000000006CC0: D1000037 00F26FB2
	v_cndmask_b32_e64 v67, v178, v67, s[60:61]                 // 000000006CC8: D1000043 00F287B2
	s_branch label_0B62                                        // 000000006CD0: BF82001B

0000000000006cd4 <label_0B47>:
	s_mov_b32 s60, 64                                          // 000000006CD4: BEBC00C0
	v_and_b32_e32 v32, 15, v0                                  // 000000006CD8: 2640008F
	v_add_u32_e64 v32, v32, s60                                // 000000006CDC: D1340020 00007920
	v_mul_i32_i24_e64 v33, s46, 16                             // 000000006CE4: D1060021 0001202E
	v_add_u32_e32 v32, v32, v33                                // 000000006CEC: 68404320
	v_cmp_lt_u32_e64 s[60:61], v32, s101                       // 000000006CF0: D0C9003C 0000CB20
	s_nop 1                                                    // 000000006CF8: BF800001
	v_cndmask_b32_e64 v56, v178, v56, s[60:61]                 // 000000006CFC: D1000038 00F271B2
	v_cndmask_b32_e64 v68, v178, v68, s[60:61]                 // 000000006D04: D1000044 00F289B2
	v_cndmask_b32_e64 v57, v178, v57, s[60:61]                 // 000000006D0C: D1000039 00F273B2
	v_cndmask_b32_e64 v69, v178, v69, s[60:61]                 // 000000006D14: D1000045 00F28BB2
	v_cndmask_b32_e64 v58, v178, v58, s[60:61]                 // 000000006D1C: D100003A 00F275B2
	v_cndmask_b32_e64 v70, v178, v70, s[60:61]                 // 000000006D24: D1000046 00F28DB2
	v_cndmask_b32_e64 v59, v178, v59, s[60:61]                 // 000000006D2C: D100003B 00F277B2
	v_cndmask_b32_e64 v71, v178, v71, s[60:61]                 // 000000006D34: D1000047 00F28FB2
	s_branch label_0B87                                        // 000000006D3C: BF820025

0000000000006d40 <label_0B62>:
	v_mov_b32_e32 v56, v178                                    // 000000006D40: 7E7003B2
	v_mov_b32_e32 v68, v178                                    // 000000006D44: 7E8803B2
	v_mov_b32_e32 v57, v178                                    // 000000006D48: 7E7203B2
	v_mov_b32_e32 v69, v178                                    // 000000006D4C: 7E8A03B2
	v_mov_b32_e32 v58, v178                                    // 000000006D50: 7E7403B2
	v_mov_b32_e32 v70, v178                                    // 000000006D54: 7E8C03B2
	v_mov_b32_e32 v59, v178                                    // 000000006D58: 7E7603B2
	v_mov_b32_e32 v71, v178                                    // 000000006D5C: 7E8E03B2
	s_branch label_0B87                                        // 000000006D60: BF82001C

0000000000006d64 <label_0B6B>:
	s_mov_b32 s60, 0x80                                        // 000000006D64: BEBC00FF 00000080
	v_and_b32_e32 v32, 15, v0                                  // 000000006D6C: 2640008F
	v_add_u32_e64 v32, v32, s60                                // 000000006D70: D1340020 00007920
	v_mul_i32_i24_e64 v33, s46, 16                             // 000000006D78: D1060021 0001202E
	v_add_u32_e32 v32, v32, v33                                // 000000006D80: 68404320
	v_cmp_lt_u32_e64 s[60:61], v32, s101                       // 000000006D84: D0C9003C 0000CB20
	s_nop 1                                                    // 000000006D8C: BF800001
	v_cndmask_b32_e64 v60, v178, v60, s[60:61]                 // 000000006D90: D100003C 00F279B2
	v_cndmask_b32_e64 v72, v178, v72, s[60:61]                 // 000000006D98: D1000048 00F291B2
	v_cndmask_b32_e64 v61, v178, v61, s[60:61]                 // 000000006DA0: D100003D 00F27BB2
	v_cndmask_b32_e64 v73, v178, v73, s[60:61]                 // 000000006DA8: D1000049 00F293B2
	v_cndmask_b32_e64 v62, v178, v62, s[60:61]                 // 000000006DB0: D100003E 00F27DB2
	v_cndmask_b32_e64 v74, v178, v74, s[60:61]                 // 000000006DB8: D100004A 00F295B2
	v_cndmask_b32_e64 v63, v178, v63, s[60:61]                 // 000000006DC0: D100003F 00F27FB2
	v_cndmask_b32_e64 v75, v178, v75, s[60:61]                 // 000000006DC8: D100004B 00F297B2
	s_branch label_0B90                                        // 000000006DD0: BF820009

0000000000006dd4 <label_0B87>:
	v_mov_b32_e32 v60, v178                                    // 000000006DD4: 7E7803B2
	v_mov_b32_e32 v72, v178                                    // 000000006DD8: 7E9003B2
	v_mov_b32_e32 v61, v178                                    // 000000006DDC: 7E7A03B2
	v_mov_b32_e32 v73, v178                                    // 000000006DE0: 7E9203B2
	v_mov_b32_e32 v62, v178                                    // 000000006DE4: 7E7C03B2
	v_mov_b32_e32 v74, v178                                    // 000000006DE8: 7E9403B2
	v_mov_b32_e32 v63, v178                                    // 000000006DEC: 7E7E03B2
	v_mov_b32_e32 v75, v178                                    // 000000006DF0: 7E9603B2
	s_branch label_0B90                                        // 000000006DF4: BF820000

0000000000006df8 <label_0B90>:
	s_addk_i32 s74, 0x1                                        // 000000006DF8: B74A0001
	s_waitcnt lgkmcnt(8)                                       // 000000006DFC: BF8CC87F
	s_barrier                                                  // 000000006E00: BF8A0000
	v_mfma_f32_16x16x16_bf16 v[76:79], v[108:109], a[72:73], 0 // 000000006E04: D3E1004C 1202916C
	ds_read_b128 a[96:99], v14 offset:4352                     // 000000006E0C: DBFE1100 6000000E
	ds_read_b128 a[100:103], v14 offset:4864                   // 000000006E14: DBFE1300 6400000E
	v_mfma_f32_16x16x16_bf16 v[76:79], v[110:111], a[74:75], v[76:79]// 000000006E1C: D3E1004C 1532956E
	v_fma_f32 v52, v52, s57, -v140                             // 000000006E24: D1CB0034 86307334
	v_fma_f32 v53, v53, s57, -v141                             // 000000006E2C: D1CB0035 86347335
	v_fma_f32 v54, v54, s57, -v142                             // 000000006E34: D1CB0036 86387336
	v_fma_f32 v55, v55, s57, -v143                             // 000000006E3C: D1CB0037 863C7337
	v_fma_f32 v56, v56, s57, -v140                             // 000000006E44: D1CB0038 86307338
	v_fma_f32 v57, v57, s57, -v141                             // 000000006E4C: D1CB0039 86347339
	v_mfma_f32_16x16x16_bf16 v[76:79], v[112:113], a[76:77], v[76:79]// 000000006E54: D3E1004C 15329970
	v_fma_f32 v58, v58, s57, -v142                             // 000000006E5C: D1CB003A 8638733A
	v_fma_f32 v59, v59, s57, -v143                             // 000000006E64: D1CB003B 863C733B
	v_fma_f32 v60, v60, s57, -v140                             // 000000006E6C: D1CB003C 8630733C
	v_fma_f32 v61, v61, s57, -v141                             // 000000006E74: D1CB003D 8634733D
	v_fma_f32 v62, v62, s57, -v142                             // 000000006E7C: D1CB003E 8638733E
	v_fma_f32 v63, v63, s57, -v143                             // 000000006E84: D1CB003F 863C733F
	v_mfma_f32_16x16x16_bf16 v[76:79], v[114:115], a[78:79], v[76:79]// 000000006E8C: D3E1004C 15329D72
	v_fma_f32 v64, v64, s57, -v144                             // 000000006E94: D1CB0040 86407340
	v_fma_f32 v65, v65, s57, -v145                             // 000000006E9C: D1CB0041 86447341
	v_fma_f32 v66, v66, s57, -v146                             // 000000006EA4: D1CB0042 86487342
	v_fma_f32 v67, v67, s57, -v147                             // 000000006EAC: D1CB0043 864C7343
	v_fma_f32 v68, v68, s57, -v144                             // 000000006EB4: D1CB0044 86407344
	v_fma_f32 v69, v69, s57, -v145                             // 000000006EBC: D1CB0045 86447345
	v_mfma_f32_16x16x16_bf16 v[80:83], v[108:109], a[80:81], 0 // 000000006EC4: D3E10050 1202A16C
	ds_read_b128 a[104:107], v14 offset:6528                   // 000000006ECC: DBFE1980 6800000E
	ds_read_b128 a[108:111], v14 offset:7040                   // 000000006ED4: DBFE1B80 6C00000E
	v_mfma_f32_16x16x16_bf16 v[80:83], v[110:111], a[82:83], v[80:83]// 000000006EDC: D3E10050 1542A56E
	v_fma_f32 v70, v70, s57, -v146                             // 000000006EE4: D1CB0046 86487346
	v_fma_f32 v71, v71, s57, -v147                             // 000000006EEC: D1CB0047 864C7347
	v_fma_f32 v72, v72, s57, -v144                             // 000000006EF4: D1CB0048 86407348
	v_fma_f32 v73, v73, s57, -v145                             // 000000006EFC: D1CB0049 86447349
	v_fma_f32 v74, v74, s57, -v146                             // 000000006F04: D1CB004A 8648734A
	v_fma_f32 v75, v75, s57, -v147                             // 000000006F0C: D1CB004B 864C734B
	v_mfma_f32_16x16x16_bf16 v[80:83], v[112:113], a[84:85], v[80:83]// 000000006F14: D3E10050 1542A970
	v_exp_f32_e32 v52, v52                                     // 000000006F1C: 7E684134
	v_exp_f32_e32 v53, v53                                     // 000000006F20: 7E6A4135
	v_mfma_f32_16x16x16_bf16 v[80:83], v[114:115], a[86:87], v[80:83]// 000000006F24: D3E10050 1542AD72
	v_exp_f32_e32 v54, v54                                     // 000000006F2C: 7E6C4136
	v_exp_f32_e32 v55, v55                                     // 000000006F30: 7E6E4137
	v_mfma_f32_16x16x16_bf16 v[84:87], v[108:109], a[88:89], 0 // 000000006F34: D3E10054 1202B16C
	ds_read_b64 v[156:157], v21 offset:31232                   // 000000006F3C: D8EC7A00 9C000015
	ds_read_b64 v[158:159], v21 offset:33280                   // 000000006F44: D8EC8200 9E000015
	v_mfma_f32_16x16x16_bf16 v[84:87], v[110:111], a[90:91], v[84:87]// 000000006F4C: D3E10054 1552B56E
	v_exp_f32_e32 v56, v56                                     // 000000006F54: 7E704138
	v_exp_f32_e32 v57, v57                                     // 000000006F58: 7E724139
	v_mfma_f32_16x16x16_bf16 v[84:87], v[112:113], a[92:93], v[84:87]// 000000006F5C: D3E10054 1552B970
	ds_read_b64 v[160:161], v21 offset:35328                   // 000000006F64: D8EC8A00 A0000015
	ds_read_b64 v[162:163], v21 offset:37376                   // 000000006F6C: D8EC9200 A2000015
	v_mfma_f32_16x16x16_bf16 v[84:87], v[114:115], a[94:95], v[84:87]// 000000006F74: D3E10054 1552BD72
	v_exp_f32_e32 v58, v58                                     // 000000006F7C: 7E74413A
	v_exp_f32_e32 v59, v59                                     // 000000006F80: 7E76413B
	v_mfma_f32_16x16x16_bf16 v[88:91], v[116:117], a[72:73], 0 // 000000006F84: D3E10058 12029174
	v_exp_f32_e32 v60, v60                                     // 000000006F8C: 7E78413C
	v_exp_f32_e32 v61, v61                                     // 000000006F90: 7E7A413D
	v_mfma_f32_16x16x16_bf16 v[88:91], v[118:119], a[74:75], v[88:91]// 000000006F94: D3E10058 15629576
	v_exp_f32_e32 v62, v62                                     // 000000006F9C: 7E7C413E
	v_exp_f32_e32 v63, v63                                     // 000000006FA0: 7E7E413F
	v_mfma_f32_16x16x16_bf16 v[88:91], v[120:121], a[76:77], v[88:91]// 000000006FA4: D3E10058 15629978
	v_exp_f32_e32 v64, v64                                     // 000000006FAC: 7E804140
	v_exp_f32_e32 v65, v65                                     // 000000006FB0: 7E824141
	v_mfma_f32_16x16x16_bf16 v[88:91], v[122:123], a[78:79], v[88:91]// 000000006FB4: D3E10058 15629D7A
	v_exp_f32_e32 v66, v66                                     // 000000006FBC: 7E844142
	v_exp_f32_e32 v67, v67                                     // 000000006FC0: 7E864143
	v_mfma_f32_16x16x16_bf16 v[92:95], v[116:117], a[80:81], 0 // 000000006FC4: D3E1005C 1202A174
	v_exp_f32_e32 v68, v68                                     // 000000006FCC: 7E884144
	v_exp_f32_e32 v69, v69                                     // 000000006FD0: 7E8A4145
	v_mfma_f32_16x16x16_bf16 v[92:95], v[118:119], a[82:83], v[92:95]// 000000006FD4: D3E1005C 1572A576
	v_exp_f32_e32 v70, v70                                     // 000000006FDC: 7E8C4146
	v_exp_f32_e32 v71, v71                                     // 000000006FE0: 7E8E4147
	v_mfma_f32_16x16x16_bf16 v[92:95], v[120:121], a[84:85], v[92:95]// 000000006FE4: D3E1005C 1572A978
	v_exp_f32_e32 v72, v72                                     // 000000006FEC: 7E904148
	v_exp_f32_e32 v73, v73                                     // 000000006FF0: 7E924149
	v_mfma_f32_16x16x16_bf16 v[92:95], v[122:123], a[86:87], v[92:95]// 000000006FF4: D3E1005C 1572AD7A
	v_exp_f32_e32 v74, v74                                     // 000000006FFC: 7E94414A
	v_exp_f32_e32 v75, v75                                     // 000000007000: 7E96414B
	v_mfma_f32_16x16x16_bf16 v[96:99], v[116:117], a[88:89], 0 // 000000007004: D3E10060 1202B174
	v_perm_b32 v164, v53, v52, s64                             // 00000000700C: D1ED00A4 01026935
	v_perm_b32 v165, v55, v54, s64                             // 000000007014: D1ED00A5 01026D37
	v_perm_b32 v166, v57, v56, s64                             // 00000000701C: D1ED00A6 01027139
	v_perm_b32 v167, v59, v58, s64                             // 000000007024: D1ED00A7 0102753B
	v_perm_b32 v168, v61, v60, s64                             // 00000000702C: D1ED00A8 0102793D
	v_perm_b32 v169, v63, v62, s64                             // 000000007034: D1ED00A9 01027D3F
	v_mfma_f32_16x16x16_bf16 v[96:99], v[118:119], a[90:91], v[96:99]// 00000000703C: D3E10060 1582B576
	v_perm_b32 v170, v65, v64, s64                             // 000000007044: D1ED00AA 01028141
	v_perm_b32 v171, v67, v66, s64                             // 00000000704C: D1ED00AB 01028543
	v_perm_b32 v172, v69, v68, s64                             // 000000007054: D1ED00AC 01028945
	v_perm_b32 v173, v71, v70, s64                             // 00000000705C: D1ED00AD 01028D47
	v_perm_b32 v174, v73, v72, s64                             // 000000007064: D1ED00AE 01029149
	v_perm_b32 v175, v75, v74, s64                             // 00000000706C: D1ED00AF 0102954B
	v_mfma_f32_16x16x16_bf16 v[96:99], v[120:121], a[92:93], v[96:99]// 000000007074: D3E10060 1582B978
	v_add_u32_e32 v6, s66, v6                                  // 00000000707C: 680C0C42
	v_add_u32_e32 v7, s66, v7                                  // 000000007080: 680E0E42
	v_add_u32_e32 v8, s66, v8                                  // 000000007084: 68101042
	v_add_u32_e32 v9, s66, v9                                  // 000000007088: 68121242
	v_mfma_f32_16x16x16_bf16 v[96:99], v[122:123], a[94:95], v[96:99]// 00000000708C: D3E10060 1582BD7A
	s_waitcnt lgkmcnt(0)                                       // 000000007094: BF8CC07F
	s_barrier                                                  // 000000007098: BF8A0000
	v_mfma_f32_16x16x16_bf16 v[180:183], v[124:125], v[164:165], v[180:183]// 00000000709C: D3E100B4 06D3497C
	v_subrev_f32_dpp v76, v176, v76 quad_perm:[0,0,0,0] row_mask:0xf bank_mask:0xf// 0000000070A4: 069898FA FF0000B0
	v_subrev_f32_dpp v77, v176, v77 quad_perm:[1,1,1,1] row_mask:0xf bank_mask:0xf// 0000000070AC: 069A9AFA FF0055B0
	v_subrev_f32_dpp v78, v176, v78 quad_perm:[2,2,2,2] row_mask:0xf bank_mask:0xf// 0000000070B4: 069C9CFA FF00AAB0
	v_subrev_f32_dpp v79, v176, v79 quad_perm:[3,3,3,3] row_mask:0xf bank_mask:0xf// 0000000070BC: 069E9EFA FF00FFB0
	v_subrev_f32_dpp v80, v176, v80 quad_perm:[0,0,0,0] row_mask:0xf bank_mask:0xf// 0000000070C4: 06A0A0FA FF0000B0
	v_subrev_f32_dpp v81, v176, v81 quad_perm:[1,1,1,1] row_mask:0xf bank_mask:0xf// 0000000070CC: 06A2A2FA FF0055B0
	v_mfma_f32_16x16x16_bf16 v[184:187], v[126:127], v[164:165], v[184:187]// 0000000070D4: D3E100B8 06E3497E
	v_subrev_f32_dpp v82, v176, v82 quad_perm:[2,2,2,2] row_mask:0xf bank_mask:0xf// 0000000070DC: 06A4A4FA FF00AAB0
	v_subrev_f32_dpp v83, v176, v83 quad_perm:[3,3,3,3] row_mask:0xf bank_mask:0xf// 0000000070E4: 06A6A6FA FF00FFB0
	v_subrev_f32_dpp v84, v176, v84 quad_perm:[0,0,0,0] row_mask:0xf bank_mask:0xf// 0000000070EC: 06A8A8FA FF0000B0
	v_subrev_f32_dpp v85, v176, v85 quad_perm:[1,1,1,1] row_mask:0xf bank_mask:0xf// 0000000070F4: 06AAAAFA FF0055B0
	v_subrev_f32_dpp v86, v176, v86 quad_perm:[2,2,2,2] row_mask:0xf bank_mask:0xf// 0000000070FC: 06ACACFA FF00AAB0
	v_subrev_f32_dpp v87, v176, v87 quad_perm:[3,3,3,3] row_mask:0xf bank_mask:0xf// 000000007104: 06AEAEFA FF00FFB0
	v_mfma_f32_16x16x16_bf16 v[188:191], v[128:129], v[164:165], v[188:191]// 00000000710C: D3E100BC 06F34980
	v_mul_f32_e32 v76, v52, v76                                // 000000007114: 0A989934
	v_mul_f32_e32 v77, v53, v77                                // 000000007118: 0A9A9B35
	v_mul_f32_e32 v78, v54, v78                                // 00000000711C: 0A9C9D36
	v_mul_f32_e32 v79, v55, v79                                // 000000007120: 0A9E9F37
	v_mul_f32_e32 v80, v56, v80                                // 000000007124: 0AA0A138
	v_mul_f32_e32 v81, v57, v81                                // 000000007128: 0AA2A339
	v_mfma_f32_16x16x16_bf16 v[192:195], v[130:131], v[164:165], v[192:195]// 00000000712C: D3E100C0 07034982
	v_mul_f32_e32 v82, v58, v82                                // 000000007134: 0AA4A53A
	v_mul_f32_e32 v83, v59, v83                                // 000000007138: 0AA6A73B
	v_mul_f32_e32 v84, v60, v84                                // 00000000713C: 0AA8A93C
	v_mul_f32_e32 v85, v61, v85                                // 000000007140: 0AAAAB3D
	v_mul_f32_e32 v86, v62, v86                                // 000000007144: 0AACAD3E
	v_mul_f32_e32 v87, v63, v87                                // 000000007148: 0AAEAF3F
	v_mfma_f32_16x16x16_bf16 v[196:199], v[124:125], v[166:167], v[196:199]// 00000000714C: D3E100C4 07134D7C
	v_perm_b32 v76, v77, v76, s64                              // 000000007154: D1ED004C 0102994D
	v_perm_b32 v77, v79, v78, s64                              // 00000000715C: D1ED004D 01029D4F
	v_perm_b32 v78, v81, v80, s64                              // 000000007164: D1ED004E 0102A151
	v_perm_b32 v79, v83, v82, s64                              // 00000000716C: D1ED004F 0102A553
	v_perm_b32 v80, v85, v84, s64                              // 000000007174: D1ED0050 0102A955
	v_perm_b32 v81, v87, v86, s64                              // 00000000717C: D1ED0051 0102AD57
	v_mfma_f32_16x16x16_bf16 v[200:203], v[126:127], v[166:167], v[200:203]// 000000007184: D3E100C8 07234D7E
	v_mov_b32_dpp v18, v76 quad_perm:[1,0,3,2] row_mask:0xf bank_mask:0xf// 00000000718C: 7E2402FA FF00B14C
	v_perm_b32 v52, v18, v76, v17                              // 000000007194: D1ED0034 04469912
	v_mov_b32_dpp v18, v77 quad_perm:[1,0,3,2] row_mask:0xf bank_mask:0xf// 00000000719C: 7E2402FA FF00B14D
	v_perm_b32 v53, v18, v77, v17                              // 0000000071A4: D1ED0035 04469B12
	v_mov_b32_dpp v18, v78 quad_perm:[1,0,3,2] row_mask:0xf bank_mask:0xf// 0000000071AC: 7E2402FA FF00B14E
	v_perm_b32 v54, v18, v78, v17                              // 0000000071B4: D1ED0036 04469D12
	v_mfma_f32_16x16x16_bf16 v[204:207], v[128:129], v[166:167], v[204:207]// 0000000071BC: D3E100CC 07334D80
	v_mov_b32_dpp v18, v79 quad_perm:[1,0,3,2] row_mask:0xf bank_mask:0xf// 0000000071C4: 7E2402FA FF00B14F
	v_perm_b32 v55, v18, v79, v17                              // 0000000071CC: D1ED0037 04469F12
	v_mov_b32_dpp v18, v80 quad_perm:[1,0,3,2] row_mask:0xf bank_mask:0xf// 0000000071D4: 7E2402FA FF00B150
	v_perm_b32 v56, v18, v80, v17                              // 0000000071DC: D1ED0038 0446A112
	v_mov_b32_dpp v18, v81 quad_perm:[1,0,3,2] row_mask:0xf bank_mask:0xf// 0000000071E4: 7E2402FA FF00B151
	v_perm_b32 v57, v18, v81, v17                              // 0000000071EC: D1ED0039 0446A312
	v_mfma_f32_16x16x16_bf16 v[208:211], v[130:131], v[166:167], v[208:211]// 0000000071F4: D3E100D0 07434D82
	ds_write_b32 v20, v52 offset:17408                         // 0000000071FC: D81A4400 00003414
	ds_write_b32 v20, v53 offset:17952                         // 000000007204: D81A4620 00003514
	v_mfma_f32_16x16x16_bf16 v[212:215], v[124:125], v[168:169], v[212:215]// 00000000720C: D3E100D4 0753517C
	v_subrev_f32_dpp v88, v177, v88 quad_perm:[0,0,0,0] row_mask:0xf bank_mask:0xf// 000000007214: 06B0B0FA FF0000B1
	v_subrev_f32_dpp v89, v177, v89 quad_perm:[1,1,1,1] row_mask:0xf bank_mask:0xf// 00000000721C: 06B2B2FA FF0055B1
	v_subrev_f32_dpp v90, v177, v90 quad_perm:[2,2,2,2] row_mask:0xf bank_mask:0xf// 000000007224: 06B4B4FA FF00AAB1
	v_subrev_f32_dpp v91, v177, v91 quad_perm:[3,3,3,3] row_mask:0xf bank_mask:0xf// 00000000722C: 06B6B6FA FF00FFB1
	v_subrev_f32_dpp v92, v177, v92 quad_perm:[0,0,0,0] row_mask:0xf bank_mask:0xf// 000000007234: 06B8B8FA FF0000B1
	v_subrev_f32_dpp v93, v177, v93 quad_perm:[1,1,1,1] row_mask:0xf bank_mask:0xf// 00000000723C: 06BABAFA FF0055B1
	v_mfma_f32_16x16x16_bf16 v[216:219], v[126:127], v[168:169], v[216:219]// 000000007244: D3E100D8 0763517E
	ds_write_b32 v20, v54 offset:19712                         // 00000000724C: D81A4D00 00003614
	ds_write_b32 v20, v55 offset:20256                         // 000000007254: D81A4F20 00003714
	v_mfma_f32_16x16x16_bf16 v[220:223], v[128:129], v[168:169], v[220:223]// 00000000725C: D3E100DC 07735180
	v_subrev_f32_dpp v94, v177, v94 quad_perm:[2,2,2,2] row_mask:0xf bank_mask:0xf// 000000007264: 06BCBCFA FF00AAB1
	v_subrev_f32_dpp v95, v177, v95 quad_perm:[3,3,3,3] row_mask:0xf bank_mask:0xf// 00000000726C: 06BEBEFA FF00FFB1
	v_subrev_f32_dpp v96, v177, v96 quad_perm:[0,0,0,0] row_mask:0xf bank_mask:0xf// 000000007274: 06C0C0FA FF0000B1
	v_subrev_f32_dpp v97, v177, v97 quad_perm:[1,1,1,1] row_mask:0xf bank_mask:0xf// 00000000727C: 06C2C2FA FF0055B1
	v_subrev_f32_dpp v98, v177, v98 quad_perm:[2,2,2,2] row_mask:0xf bank_mask:0xf// 000000007284: 06C4C4FA FF00AAB1
	v_subrev_f32_dpp v99, v177, v99 quad_perm:[3,3,3,3] row_mask:0xf bank_mask:0xf// 00000000728C: 06C6C6FA FF00FFB1
	v_mfma_f32_16x16x16_bf16 v[224:227], v[130:131], v[168:169], v[224:227]// 000000007294: D3E100E0 07835182
	ds_write_b32 v20, v56 offset:22016                         // 00000000729C: D81A5600 00003814
	ds_write_b32 v20, v57 offset:22560                         // 0000000072A4: D81A5820 00003914
	v_mfma_f32_16x16x16_bf16 v[180:183], v[132:133], v[170:171], v[180:183]// 0000000072AC: D3E100B4 06D35584
	v_mul_f32_e32 v88, v64, v88                                // 0000000072B4: 0AB0B140
	v_mul_f32_e32 v89, v65, v89                                // 0000000072B8: 0AB2B341
	v_mul_f32_e32 v90, v66, v90                                // 0000000072BC: 0AB4B542
	v_mul_f32_e32 v91, v67, v91                                // 0000000072C0: 0AB6B743
	v_mul_f32_e32 v92, v68, v92                                // 0000000072C4: 0AB8B944
	v_mul_f32_e32 v93, v69, v93                                // 0000000072C8: 0ABABB45
	v_mfma_f32_16x16x16_bf16 v[184:187], v[134:135], v[170:171], v[184:187]// 0000000072CC: D3E100B8 06E35586
	v_mul_f32_e32 v94, v70, v94                                // 0000000072D4: 0ABCBD46
	v_mul_f32_e32 v95, v71, v95                                // 0000000072D8: 0ABEBF47
	v_mul_f32_e32 v96, v72, v96                                // 0000000072DC: 0AC0C148
	v_mul_f32_e32 v97, v73, v97                                // 0000000072E0: 0AC2C349
	v_mul_f32_e32 v98, v74, v98                                // 0000000072E4: 0AC4C54A
	v_mul_f32_e32 v99, v75, v99                                // 0000000072E8: 0AC6C74B
	v_mfma_f32_16x16x16_bf16 v[188:191], v[136:137], v[170:171], v[188:191]// 0000000072EC: D3E100BC 06F35588
	v_perm_b32 v82, v89, v88, s64                              // 0000000072F4: D1ED0052 0102B159
	v_perm_b32 v83, v91, v90, s64                              // 0000000072FC: D1ED0053 0102B55B
	v_perm_b32 v84, v93, v92, s64                              // 000000007304: D1ED0054 0102B95D
	v_perm_b32 v85, v95, v94, s64                              // 00000000730C: D1ED0055 0102BD5F
	v_perm_b32 v86, v97, v96, s64                              // 000000007314: D1ED0056 0102C161
	v_perm_b32 v87, v99, v98, s64                              // 00000000731C: D1ED0057 0102C563
	v_mfma_f32_16x16x16_bf16 v[192:195], v[138:139], v[170:171], v[192:195]// 000000007324: D3E100C0 0703558A
	v_mov_b32_dpp v18, v82 quad_perm:[1,0,3,2] row_mask:0xf bank_mask:0xf// 00000000732C: 7E2402FA FF00B152
	v_perm_b32 v58, v18, v82, v17                              // 000000007334: D1ED003A 0446A512
	v_mov_b32_dpp v18, v83 quad_perm:[1,0,3,2] row_mask:0xf bank_mask:0xf// 00000000733C: 7E2402FA FF00B153
	v_perm_b32 v59, v18, v83, v17                              // 000000007344: D1ED003B 0446A712
	v_mov_b32_dpp v18, v84 quad_perm:[1,0,3,2] row_mask:0xf bank_mask:0xf// 00000000734C: 7E2402FA FF00B154
	v_perm_b32 v60, v18, v84, v17                              // 000000007354: D1ED003C 0446A912
	v_mfma_f32_16x16x16_bf16 v[196:199], v[132:133], v[172:173], v[196:199]// 00000000735C: D3E100C4 07135984
	v_mov_b32_dpp v18, v85 quad_perm:[1,0,3,2] row_mask:0xf bank_mask:0xf// 000000007364: 7E2402FA FF00B155
	v_perm_b32 v61, v18, v85, v17                              // 00000000736C: D1ED003D 0446AB12
	v_mov_b32_dpp v18, v86 quad_perm:[1,0,3,2] row_mask:0xf bank_mask:0xf// 000000007374: 7E2402FA FF00B156
	v_perm_b32 v62, v18, v86, v17                              // 00000000737C: D1ED003E 0446AD12
	v_mov_b32_dpp v18, v87 quad_perm:[1,0,3,2] row_mask:0xf bank_mask:0xf// 000000007384: 7E2402FA FF00B157
	v_perm_b32 v63, v18, v87, v17                              // 00000000738C: D1ED003F 0446AF12
	v_mfma_f32_16x16x16_bf16 v[200:203], v[134:135], v[172:173], v[200:203]// 000000007394: D3E100C8 07235986
	ds_write_b32 v20, v58 offset:24320                         // 00000000739C: D81A5F00 00003A14
	ds_write_b32 v20, v59 offset:24864                         // 0000000073A4: D81A6120 00003B14
	v_mfma_f32_16x16x16_bf16 v[204:207], v[136:137], v[172:173], v[204:207]// 0000000073AC: D3E100CC 07335988
	v_mfma_f32_16x16x16_bf16 v[208:211], v[138:139], v[172:173], v[208:211]// 0000000073B4: D3E100D0 0743598A
	ds_write_b32 v20, v60 offset:26624                         // 0000000073BC: D81A6800 00003C14
	ds_write_b32 v20, v61 offset:27168                         // 0000000073C4: D81A6A20 00003D14
	ds_write_b32 v20, v62 offset:28928                         // 0000000073CC: D81A7100 00003E14
	ds_write_b32 v20, v63 offset:29472                         // 0000000073D4: D81A7320 00003F14
	v_mfma_f32_16x16x16_bf16 v[212:215], v[132:133], v[174:175], v[212:215]// 0000000073DC: D3E100D4 07535D84
	v_mfma_f32_16x16x16_bf16 v[216:219], v[134:135], v[174:175], v[216:219]// 0000000073E4: D3E100D8 07635D86
	ds_write_b32 v15, v100 offset:4352                         // 0000000073EC: D81A1100 0000640F
	ds_write_b32 v15, v101 offset:5408                         // 0000000073F4: D81A1520 0000650F
	v_mfma_f32_16x16x16_bf16 v[220:223], v[136:137], v[174:175], v[220:223]// 0000000073FC: D3E100DC 07735D88
	s_nop 0                                                    // 000000007404: BF800000
	s_nop 0                                                    // 000000007408: BF800000
	s_nop 0                                                    // 00000000740C: BF800000
	v_mfma_f32_16x16x16_bf16 v[224:227], v[138:139], v[174:175], v[224:227]// 000000007410: D3E100E0 07835D8A
	ds_write_b32 v15, v102 offset:6528                         // 000000007418: D81A1980 0000660F
	ds_write_b32 v15, v103 offset:7584                         // 000000007420: D81A1DA0 0000670F
	s_barrier                                                  // 000000007428: BF8A0000
	v_mfma_f32_16x16x16_bf16 a[112:115], a[96:97], v[76:77], a[112:115]// 00000000742C: D3E18070 0DC29960
	buffer_atomic_add_f32 v156, v6, s[32:35], 0 idxen          // 000000007434: E1342000 80089C06
	v_mfma_f32_16x16x16_bf16 a[116:119], a[98:99], v[76:77], a[116:119]// 00000000743C: D3E18074 0DD29962
	ds_read_b32 v140, v23 offset:39424                         // 000000007444: D86C9A00 8C000017
	ds_read_b32 v144, v23 offset:39488                         // 00000000744C: D86C9A40 90000017
	ds_read_b32 v176, v23 offset:39680                         // 000000007454: D86C9B00 B0000017
	ds_read_b32 v177, v23 offset:39744                         // 00000000745C: D86C9B40 B1000017
	v_mfma_f32_16x16x16_bf16 a[120:123], a[100:101], v[76:77], a[120:123]// 000000007464: D3E18078 0DE29964
	s_waitcnt lgkmcnt(8)                                       // 00000000746C: BF8CC87F
	s_barrier                                                  // 000000007470: BF8A0000
	v_mfma_f32_16x16x16_bf16 a[124:127], a[102:103], v[76:77], a[124:127]// 000000007474: D3E1807C 0DF29966
	ds_read_b128 v[52:55], v19 offset:17408                    // 00000000747C: D9FE4400 34000013
	v_mfma_f32_16x16x16_bf16 a[128:131], a[96:97], v[78:79], a[128:131]// 000000007484: D3E18080 0E029D60
	v_mfma_f32_16x16x16_bf16 a[132:135], a[98:99], v[78:79], a[132:135]// 00000000748C: D3E18084 0E129D62
	ds_read_b128 v[56:59], v19 offset:18560                    // 000000007494: D9FE4880 38000013
	v_mfma_f32_16x16x16_bf16 a[136:139], a[100:101], v[78:79], a[136:139]// 00000000749C: D3E18088 0E229D64
	buffer_atomic_add_f32 v157, v7, s[32:35], 0 idxen          // 0000000074A4: E1342000 80089D07
	v_mfma_f32_16x16x16_bf16 a[140:143], a[102:103], v[78:79], a[140:143]// 0000000074AC: D3E1808C 0E329D66
	ds_read_b128 v[60:63], v19 offset:19712                    // 0000000074B4: D9FE4D00 3C000013
	v_mfma_f32_16x16x16_bf16 a[144:147], a[96:97], v[80:81], a[144:147]// 0000000074BC: D3E18090 0E42A160
	v_mfma_f32_16x16x16_bf16 a[148:151], a[98:99], v[80:81], a[148:151]// 0000000074C4: D3E18094 0E52A162
	ds_read_b128 v[64:67], v19 offset:20864                    // 0000000074CC: D9FE5180 40000013
	v_mfma_f32_16x16x16_bf16 a[152:155], a[100:101], v[80:81], a[152:155]// 0000000074D4: D3E18098 0E62A164
	v_mfma_f32_16x16x16_bf16 a[156:159], a[102:103], v[80:81], a[156:159]// 0000000074DC: D3E1809C 0E72A166
	ds_read_b128 v[68:71], v19 offset:22016                    // 0000000074E4: D9FE5600 44000013
	v_mfma_f32_16x16x16_bf16 a[112:115], a[104:105], v[82:83], a[112:115]// 0000000074EC: D3E18070 0DC2A568
	buffer_atomic_add_f32 v158, v6, s[32:35], 0 idxen offset:128// 0000000074F4: E1342080 80089E06
	v_mfma_f32_16x16x16_bf16 a[116:119], a[106:107], v[82:83], a[116:119]// 0000000074FC: D3E18074 0DD2A56A
	ds_read_b128 v[72:75], v19 offset:23168                    // 000000007504: D9FE5A80 48000013
	v_mfma_f32_16x16x16_bf16 a[120:123], a[108:109], v[82:83], a[120:123]// 00000000750C: D3E18078 0DE2A56C
	v_mfma_f32_16x16x16_bf16 a[124:127], a[110:111], v[82:83], a[124:127]// 000000007514: D3E1807C 0DF2A56E
	ds_write_b32 v15, v104 offset:13056                        // 00000000751C: D81A3300 0000680F
	v_mfma_f32_16x16x16_bf16 a[128:131], a[104:105], v[84:85], a[128:131]// 000000007524: D3E18080 0E02A968
	v_mfma_f32_16x16x16_bf16 a[132:135], a[106:107], v[84:85], a[132:135]// 00000000752C: D3E18084 0E12A96A
	ds_write_b32 v15, v105 offset:14112                        // 000000007534: D81A3720 0000690F
	v_mfma_f32_16x16x16_bf16 a[136:139], a[108:109], v[84:85], a[136:139]// 00000000753C: D3E18088 0E22A96C
	buffer_atomic_add_f32 v159, v7, s[32:35], 0 idxen offset:128// 000000007544: E1342080 80089F07
	v_mfma_f32_16x16x16_bf16 a[140:143], a[110:111], v[84:85], a[140:143]// 00000000754C: D3E1808C 0E32A96E
	ds_write_b32 v15, v106 offset:15232                        // 000000007554: D81A3B80 00006A0F
	v_mfma_f32_16x16x16_bf16 a[144:147], a[104:105], v[86:87], a[144:147]// 00000000755C: D3E18090 0E42AD68
	v_mfma_f32_16x16x16_bf16 a[148:151], a[106:107], v[86:87], a[148:151]// 000000007564: D3E18094 0E52AD6A
	ds_write_b32 v15, v107 offset:16288                        // 00000000756C: D81A3FA0 00006B0F
	v_mfma_f32_16x16x16_bf16 a[152:155], a[108:109], v[86:87], a[152:155]// 000000007574: D3E18098 0E62AD6C
	v_mfma_f32_16x16x16_bf16 a[156:159], a[110:111], v[86:87], a[156:159]// 00000000757C: D3E1809C 0E72AD6E
	s_waitcnt vmcnt(8) lgkmcnt(4)                              // 000000007584: BF8C0478
	s_barrier                                                  // 000000007588: BF8A0000
	v_mfma_f32_16x16x16_bf16 v[148:151], v[52:53], a[24:25], 0 // 00000000758C: D3E10094 12023134
	v_mul_f32_e32 v140, s48, v140                              // 000000007594: 0B191830
	v_mul_f32_e32 v144, s48, v144                              // 000000007598: 0B212030
	s_nop 0                                                    // 00000000759C: BF800000
	v_mfma_f32_16x16x16_bf16 v[148:151], v[54:55], a[28:29], v[148:151]// 0000000075A0: D3E10094 16523936
	ds_read_b128 a[96:99], v12                                 // 0000000075A8: DBFE0000 6000000C
	buffer_load_dword v36, v1, s[8:11], 0 idxen                // 0000000075B0: E0502000 80022401
	v_mfma_f32_16x16x16_bf16 v[148:151], v[56:57], a[32:33], v[148:151]// 0000000075B8: D3E10094 16524138
	v_mfma_f32_16x16x16_bf16 v[148:151], v[58:59], a[36:37], v[148:151]// 0000000075C0: D3E10094 1652493A
	ds_read_b128 a[100:103], v12 offset:512                    // 0000000075C8: DBFE0200 6400000C
	buffer_load_dword v37, v2, s[8:11], 0 idxen                // 0000000075D0: E0502000 80022502
	v_mfma_f32_16x16x16_bf16 v[148:151], v[60:61], a[40:41], v[148:151]// 0000000075D8: D3E10094 1652513C
	v_perm_b32 v100, v41, v40, s63                             // 0000000075E0: D1ED0064 00FE5129
	v_perm_b32 v101, v41, v40, s64                             // 0000000075E8: D1ED0065 01025129
	v_mfma_f32_16x16x16_bf16 v[148:151], v[62:63], a[44:45], v[148:151]// 0000000075F0: D3E10094 1652593E
	ds_read_b128 a[104:107], v12 offset:2176                   // 0000000075F8: DBFE0880 6800000C
	buffer_load_dword v38, v3, s[8:11], 0 idxen                // 000000007600: E0502000 80022603
	v_mfma_f32_16x16x16_bf16 v[148:151], v[64:65], a[48:49], v[148:151]// 000000007608: D3E10094 16526140
	v_perm_b32 v102, v43, v42, s63                             // 000000007610: D1ED0066 00FE552B
	v_perm_b32 v103, v43, v42, s64                             // 000000007618: D1ED0067 0102552B
	v_mfma_f32_16x16x16_bf16 v[148:151], v[66:67], a[52:53], v[148:151]// 000000007620: D3E10094 16526942
	ds_read_b128 a[108:111], v12 offset:2688                   // 000000007628: DBFE0A80 6C00000C
	buffer_load_dword v39, v4, s[8:11], 0 idxen                // 000000007630: E0502000 80022704
	v_mfma_f32_16x16x16_bf16 v[148:151], v[68:69], a[56:57], v[148:151]// 000000007638: D3E10094 16527144
	v_perm_b32 v104, v49, v48, s63                             // 000000007640: D1ED0068 00FE6131
	v_perm_b32 v105, v49, v48, s64                             // 000000007648: D1ED0069 01026131
	v_mfma_f32_16x16x16_bf16 v[148:151], v[70:71], a[60:61], v[148:151]// 000000007650: D3E10094 16527946
	ds_read_b128 v[108:111], v12 offset:8704                   // 000000007658: D9FE2200 6C00000C
	buffer_load_dword v44, v232, s[20:23], 0 idxen             // 000000007660: E0502000 80052CE8
	v_mfma_f32_16x16x16_bf16 v[148:151], v[72:73], a[64:65], v[148:151]// 000000007668: D3E10094 16528148
	v_perm_b32 v106, v51, v50, s63                             // 000000007670: D1ED006A 00FE6533
	v_perm_b32 v107, v51, v50, s64                             // 000000007678: D1ED006B 01026533
	v_mfma_f32_16x16x16_bf16 v[148:151], v[74:75], a[68:69], v[148:151]// 000000007680: D3E10094 1652894A
	ds_read_b128 v[112:115], v12 offset:9216                   // 000000007688: D9FE2400 7000000C
	buffer_load_dword v45, v233, s[20:23], 0 idxen             // 000000007690: E0502000 80052DE9
	v_mfma_f32_16x16x16_bf16 v[152:155], v[52:53], a[26:27], 0 // 000000007698: D3E10098 12023534
	v_mov_b32_dpp v143, v140 quad_perm:[3,3,3,3] row_mask:0xf bank_mask:0xf// 0000000076A0: 7F1E02FA FF00FF8C
	v_mov_b32_dpp v142, v140 quad_perm:[2,2,2,2] row_mask:0xf bank_mask:0xf// 0000000076A8: 7F1C02FA FF00AA8C
	v_mov_b32_dpp v141, v140 quad_perm:[1,1,1,1] row_mask:0xf bank_mask:0xf// 0000000076B0: 7F1A02FA FF00558C
	v_mov_b32_dpp v140, v140 quad_perm:[0,0,0,0] row_mask:0xf bank_mask:0xf// 0000000076B8: 7F1802FA FF00008C
	v_mfma_f32_16x16x16_bf16 v[152:155], v[54:55], a[30:31], v[152:155]// 0000000076C0: D3E10098 16623D36
	ds_read_b128 v[116:119], v12 offset:10880                  // 0000000076C8: D9FE2A80 7400000C
	buffer_load_dword v46, v234, s[20:23], 0 idxen             // 0000000076D0: E0502000 80052EEA
	v_mfma_f32_16x16x16_bf16 v[152:155], v[56:57], a[34:35], v[152:155]// 0000000076D8: D3E10098 16624538
	v_mov_b32_dpp v147, v144 quad_perm:[3,3,3,3] row_mask:0xf bank_mask:0xf// 0000000076E0: 7F2602FA FF00FF90
	v_mov_b32_dpp v146, v144 quad_perm:[2,2,2,2] row_mask:0xf bank_mask:0xf// 0000000076E8: 7F2402FA FF00AA90
	v_mov_b32_dpp v145, v144 quad_perm:[1,1,1,1] row_mask:0xf bank_mask:0xf// 0000000076F0: 7F2202FA FF005590
	v_mov_b32_dpp v144, v144 quad_perm:[0,0,0,0] row_mask:0xf bank_mask:0xf// 0000000076F8: 7F2002FA FF000090
	s_add_u32 s60, 0x80, s59                                   // 000000007700: 803C3BFF 00000080
	v_mfma_f32_16x16x16_bf16 v[152:155], v[58:59], a[38:39], v[152:155]// 000000007708: D3E10098 16624D3A
	ds_read_b128 v[120:123], v12 offset:11392                  // 000000007710: D9FE2C80 7800000C
	buffer_load_dword v47, v235, s[20:23], 0 idxen             // 000000007718: E0502000 80052FEB
	v_mfma_f32_16x16x16_bf16 v[152:155], v[60:61], a[42:43], v[152:155]// 000000007720: D3E10098 1662553C
	s_cmp_lt_u32 s60, s58                                      // 000000007728: BF0A3A3C
	s_cselect_b32 s68, s68, 0                                  // 00000000772C: 85448044
	s_cselect_b32 s99, s99, 0                                  // 000000007730: 85638063
	s_cselect_b32 s69, s69, 0                                  // 000000007734: 85458045
	v_mfma_f32_16x16x16_bf16 v[152:155], v[62:63], a[46:47], v[152:155]// 000000007738: D3E10098 16625D3E
	buffer_load_dword v11, s[24:27], 0 idxen lds               // 000000007740: E0512000 8006000B
	v_mfma_f32_16x16x16_bf16 v[152:155], v[64:65], a[50:51], v[152:155]// 000000007748: D3E10098 16626540
	v_add_u32_e32 v1, s68, v1                                  // 000000007750: 68020244
	v_add_u32_e32 v2, s68, v2                                  // 000000007754: 68040444
	;; [unrolled: 1-line block ×3, first 2 shown]
	v_add_u32_e32 v4, s68, v4                                  // 00000000775C: 68080844
	v_mfma_f32_16x16x16_bf16 v[152:155], v[66:67], a[54:55], v[152:155]// 000000007760: D3E10098 16626D42
	v_add_u32_e32 v232, s99, v232                              // 000000007768: 69D1D063
	v_add_u32_e32 v233, s99, v233                              // 00000000776C: 69D3D263
	v_add_u32_e32 v234, s99, v234                              // 000000007770: 69D5D463
	v_add_u32_e32 v235, s99, v235                              // 000000007774: 69D7D663
	v_mfma_f32_16x16x16_bf16 v[152:155], v[68:69], a[58:59], v[152:155]// 000000007778: D3E10098 16627544
	s_mov_b32 m0, s81                                          // 000000007780: BEFC0051
	v_add_u32_e32 v11, s69, v11                                // 000000007784: 68161645
	v_mfma_f32_16x16x16_bf16 v[152:155], v[70:71], a[62:63], v[152:155]// 000000007788: D3E10098 16627D46
	s_cmp_ge_u32 s59, s73                                      // 000000007790: BF09493B
	s_cselect_b32 s66, s67, s66                                // 000000007794: 85424243
	v_mfma_f32_16x16x16_bf16 v[152:155], v[72:73], a[66:67], v[152:155]// 000000007798: D3E10098 16628548
	s_addk_i32 s59, 0x20                                       // 0000000077A0: B73B0020
	s_nop 0                                                    // 0000000077A4: BF800000
	s_cmp_lt_i32 s59, s58                                      // 0000000077A8: BF043A3B
	v_mfma_f32_16x16x16_bf16 v[152:155], v[74:75], a[70:71], v[152:155]// 0000000077AC: D3E10098 16628D4A
	s_cbranch_scc0 label_0E01                                  // 0000000077B4: BF840001
	s_branch label_0666                                        // 0000000077B8: BF82F877

00000000000077bc <label_0E01>:
	s_nop 0                                                    // 0000000077BC: BF800000
	s_nop 0                                                    // 0000000077C0: BF800000
	s_branch label_159F                                        // 0000000077C4: BF820789

00000000000077c8 <label_0E04>:
	s_waitcnt lgkmcnt(0)                                       // 0000000077C8: BF8CC07F
	s_barrier                                                  // 0000000077CC: BF8A0000
	v_mfma_f32_16x16x16_bf16 v[52:55], a[96:97], a[0:1], 0     // 0000000077D0: D3E10034 1A020160
	v_mul_f32_e32 v148, s47, v148                              // 0000000077D8: 0B29282F
	v_mul_f32_e32 v149, s47, v149                              // 0000000077DC: 0B2B2A2F
	v_mfma_f32_16x16x16_bf16 v[52:55], a[98:99], a[2:3], v[52:55]// 0000000077E0: D3E10034 1CD20562
	ds_write_b32 v13, v48 offset:8704                          // 0000000077E8: D81A2200 0000300D
	ds_write_b32 v13, v49 offset:9760                          // 0000000077F0: D81A2620 0000310D
	v_mfma_f32_16x16x16_bf16 v[52:55], a[100:101], a[4:5], v[52:55]// 0000000077F8: D3E10034 1CD20964
	v_mul_f32_e32 v150, s47, v150                              // 000000007800: 0B2D2C2F
	v_mul_f32_e32 v151, s47, v151                              // 000000007804: 0B2F2E2F
	v_mfma_f32_16x16x16_bf16 v[52:55], a[102:103], a[6:7], v[52:55]// 000000007808: D3E10034 1CD20D66
	ds_write_b32 v13, v50 offset:10880                         // 000000007810: D81A2A80 0000320D
	ds_write_b32 v13, v51 offset:11936                         // 000000007818: D81A2EA0 0000330D
	v_mfma_f32_16x16x16_bf16 v[56:59], a[96:97], a[8:9], 0     // 000000007820: D3E10038 1A021160
	v_mul_f32_e32 v152, s47, v152                              // 000000007828: 0B31302F
	v_mul_f32_e32 v153, s47, v153                              // 00000000782C: 0B33322F
	v_mfma_f32_16x16x16_bf16 v[56:59], a[98:99], a[10:11], v[56:59]// 000000007830: D3E10038 1CE21562
	ds_write_b64 v22, v[148:149] offset:31232                  // 000000007838: D89A7A00 00009416
	v_mfma_f32_16x16x16_bf16 v[56:59], a[100:101], a[12:13], v[56:59]// 000000007840: D3E10038 1CE21964
	v_mul_f32_e32 v154, s47, v154                              // 000000007848: 0B35342F
	v_mul_f32_e32 v155, s47, v155                              // 00000000784C: 0B37362F
	v_mfma_f32_16x16x16_bf16 v[56:59], a[102:103], a[14:15], v[56:59]// 000000007850: D3E10038 1CE21D66
	ds_write_b64 v22, v[150:151] offset:31744                  // 000000007858: D89A7C00 00009616
	v_mfma_f32_16x16x16_bf16 v[60:63], a[96:97], a[16:17], 0   // 000000007860: D3E1003C 1A022160
	buffer_atomic_add_f32 v160, v8, s[32:35], 0 idxen          // 000000007868: E1342000 8008A008
	v_mfma_f32_16x16x16_bf16 v[60:63], a[98:99], a[18:19], v[60:63]// 000000007870: D3E1003C 1CF22562
	ds_write_b64 v22, v[152:153] offset:32256                  // 000000007878: D89A7E00 00009816
	v_mfma_f32_16x16x16_bf16 v[60:63], a[100:101], a[20:21], v[60:63]// 000000007880: D3E1003C 1CF22964
	v_mfma_f32_16x16x16_bf16 v[60:63], a[102:103], a[22:23], v[60:63]// 000000007888: D3E1003C 1CF22D66
	ds_write_b64 v22, v[154:155] offset:32768                  // 000000007890: D89A8000 00009A16
	v_mfma_f32_16x16x16_bf16 v[64:67], a[104:105], a[0:1], 0   // 000000007898: D3E10040 1A020168
	buffer_atomic_add_f32 v161, v9, s[32:35], 0 idxen          // 0000000078A0: E1342000 8008A109
	v_mfma_f32_16x16x16_bf16 v[64:67], a[106:107], a[2:3], v[64:67]// 0000000078A8: D3E10040 1D02056A
	ds_read_b128 v[124:127], v14 offset:13056                  // 0000000078B0: D9FE3300 7C00000E
	ds_write_b32 v13, v40                                      // 0000000078B8: D81A0000 0000280D
	v_mfma_f32_16x16x16_bf16 v[64:67], a[108:109], a[4:5], v[64:67]// 0000000078C0: D3E10040 1D02096C
	v_mfma_f32_16x16x16_bf16 v[64:67], a[110:111], a[6:7], v[64:67]// 0000000078C8: D3E10040 1D020D6E
	v_mfma_f32_16x16x16_bf16 v[68:71], a[104:105], a[8:9], 0   // 0000000078D0: D3E10044 1A021168
	ds_read_b128 v[128:131], v14 offset:13568                  // 0000000078D8: D9FE3500 8000000E
	ds_write_b32 v13, v41 offset:1056                          // 0000000078E0: D81A0420 0000290D
	v_mfma_f32_16x16x16_bf16 v[68:71], a[106:107], a[10:11], v[68:71]// 0000000078E8: D3E10044 1D12156A
	buffer_atomic_add_f32 v162, v8, s[32:35], 0 idxen offset:128// 0000000078F0: E1342080 8008A208
	v_mfma_f32_16x16x16_bf16 v[68:71], a[108:109], a[12:13], v[68:71]// 0000000078F8: D3E10044 1D12196C
	v_mfma_f32_16x16x16_bf16 v[68:71], a[110:111], a[14:15], v[68:71]// 000000007900: D3E10044 1D121D6E
	ds_read_b128 v[132:135], v14 offset:15232                  // 000000007908: D9FE3B80 8400000E
	ds_write_b32 v13, v42 offset:2176                          // 000000007910: D81A0880 00002A0D
	v_mfma_f32_16x16x16_bf16 v[72:75], a[104:105], a[16:17], 0 // 000000007918: D3E10048 1A022168
	v_mfma_f32_16x16x16_bf16 v[72:75], a[106:107], a[18:19], v[72:75]// 000000007920: D3E10048 1D22256A
	buffer_atomic_add_f32 v163, v9, s[32:35], 0 idxen offset:128// 000000007928: E1342080 8008A309
	v_mfma_f32_16x16x16_bf16 v[72:75], a[108:109], a[20:21], v[72:75]// 000000007930: D3E10048 1D22296C
	ds_read_b128 v[136:139], v14 offset:15744                  // 000000007938: D9FE3D80 8800000E
	ds_write_b32 v13, v43 offset:3232                          // 000000007940: D81A0CA0 00002B0D
	v_mfma_f32_16x16x16_bf16 v[72:75], a[110:111], a[22:23], v[72:75]// 000000007948: D3E10048 1D222D6E
	s_cmp_eq_i32 s94, 0                                        // 000000007950: BF00805E
	s_cbranch_scc1 label_0F61                                  // 000000007954: BF8500F0
	s_cmp_lt_i32 s74, 6                                        // 000000007958: BF04864A
	s_cbranch_scc0 label_0EE8                                  // 00000000795C: BF84007E
	s_lshl_b32 s60, s74, 5                                     // 000000007960: 8E3C854A
	s_lshl_b32 s61, 0, 4                                       // 000000007964: 8E3D8480
	s_add_i32 s60, s60, s61                                    // 000000007968: 813C3D3C
	v_sub_i32 v32, v236, s60                                   // 00000000796C: D29D0020 000079EC
	s_mov_b32 s61, 0                                           // 000000007974: BEBD0080
	v_add_i32 v33, v32, s61                                    // 000000007978: D29C0021 00007B20
	v_cmp_gt_i32_e64 s[90:91], v33, 0                          // 000000007980: D0C4005A 00010121
	v_cmp_gt_i32_e64 s[92:93], v33, 1                          // 000000007988: D0C4005C 00010321
	v_cndmask_b32_e64 v52, v52, v178, s[90:91]                 // 000000007990: D1000034 016B6534
	v_cndmask_b32_e64 v53, v53, v178, s[92:93]                 // 000000007998: D1000035 01736535
	v_cmp_gt_i32_e64 s[90:91], v33, 2                          // 0000000079A0: D0C4005A 00010521
	v_cmp_gt_i32_e64 s[92:93], v33, 3                          // 0000000079A8: D0C4005C 00010721
	v_cndmask_b32_e64 v54, v54, v178, s[90:91]                 // 0000000079B0: D1000036 016B6536
	v_cndmask_b32_e64 v55, v55, v178, s[92:93]                 // 0000000079B8: D1000037 01736537
	s_mov_b32 s61, 64                                          // 0000000079C0: BEBD00C0
	v_add_i32 v33, v32, s61                                    // 0000000079C4: D29C0021 00007B20
	v_cmp_gt_i32_e64 s[90:91], v33, 0                          // 0000000079CC: D0C4005A 00010121
	v_cmp_gt_i32_e64 s[92:93], v33, 1                          // 0000000079D4: D0C4005C 00010321
	v_cndmask_b32_e64 v56, v56, v178, s[90:91]                 // 0000000079DC: D1000038 016B6538
	v_cndmask_b32_e64 v57, v57, v178, s[92:93]                 // 0000000079E4: D1000039 01736539
	v_cmp_gt_i32_e64 s[90:91], v33, 2                          // 0000000079EC: D0C4005A 00010521
	v_cmp_gt_i32_e64 s[92:93], v33, 3                          // 0000000079F4: D0C4005C 00010721
	v_cndmask_b32_e64 v58, v58, v178, s[90:91]                 // 0000000079FC: D100003A 016B653A
	v_cndmask_b32_e64 v59, v59, v178, s[92:93]                 // 000000007A04: D100003B 0173653B
	s_mov_b32 s61, 0x80                                        // 000000007A0C: BEBD00FF 00000080
	v_add_i32 v33, v32, s61                                    // 000000007A14: D29C0021 00007B20
	v_cmp_gt_i32_e64 s[90:91], v33, 0                          // 000000007A1C: D0C4005A 00010121
	v_cmp_gt_i32_e64 s[92:93], v33, 1                          // 000000007A24: D0C4005C 00010321
	v_cndmask_b32_e64 v60, v60, v178, s[90:91]                 // 000000007A2C: D100003C 016B653C
	v_cndmask_b32_e64 v61, v61, v178, s[92:93]                 // 000000007A34: D100003D 0173653D
	v_cmp_gt_i32_e64 s[90:91], v33, 2                          // 000000007A3C: D0C4005A 00010521
	v_cmp_gt_i32_e64 s[92:93], v33, 3                          // 000000007A44: D0C4005C 00010721
	v_cndmask_b32_e64 v62, v62, v178, s[90:91]                 // 000000007A4C: D100003E 016B653E
	v_cndmask_b32_e64 v63, v63, v178, s[92:93]                 // 000000007A54: D100003F 0173653F
	s_lshl_b32 s60, s74, 5                                     // 000000007A5C: 8E3C854A
	s_lshl_b32 s61, 1, 4                                       // 000000007A60: 8E3D8481
	s_add_i32 s60, s60, s61                                    // 000000007A64: 813C3D3C
	v_sub_i32 v32, v236, s60                                   // 000000007A68: D29D0020 000079EC
	s_mov_b32 s61, 0                                           // 000000007A70: BEBD0080
	v_add_i32 v33, v32, s61                                    // 000000007A74: D29C0021 00007B20
	v_cmp_gt_i32_e64 s[90:91], v33, 0                          // 000000007A7C: D0C4005A 00010121
	v_cmp_gt_i32_e64 s[92:93], v33, 1                          // 000000007A84: D0C4005C 00010321
	v_cndmask_b32_e64 v64, v64, v178, s[90:91]                 // 000000007A8C: D1000040 016B6540
	v_cndmask_b32_e64 v65, v65, v178, s[92:93]                 // 000000007A94: D1000041 01736541
	v_cmp_gt_i32_e64 s[90:91], v33, 2                          // 000000007A9C: D0C4005A 00010521
	v_cmp_gt_i32_e64 s[92:93], v33, 3                          // 000000007AA4: D0C4005C 00010721
	v_cndmask_b32_e64 v66, v66, v178, s[90:91]                 // 000000007AAC: D1000042 016B6542
	v_cndmask_b32_e64 v67, v67, v178, s[92:93]                 // 000000007AB4: D1000043 01736543
	s_mov_b32 s61, 64                                          // 000000007ABC: BEBD00C0
	v_add_i32 v33, v32, s61                                    // 000000007AC0: D29C0021 00007B20
	v_cmp_gt_i32_e64 s[90:91], v33, 0                          // 000000007AC8: D0C4005A 00010121
	v_cmp_gt_i32_e64 s[92:93], v33, 1                          // 000000007AD0: D0C4005C 00010321
	v_cndmask_b32_e64 v68, v68, v178, s[90:91]                 // 000000007AD8: D1000044 016B6544
	v_cndmask_b32_e64 v69, v69, v178, s[92:93]                 // 000000007AE0: D1000045 01736545
	v_cmp_gt_i32_e64 s[90:91], v33, 2                          // 000000007AE8: D0C4005A 00010521
	v_cmp_gt_i32_e64 s[92:93], v33, 3                          // 000000007AF0: D0C4005C 00010721
	v_cndmask_b32_e64 v70, v70, v178, s[90:91]                 // 000000007AF8: D1000046 016B6546
	v_cndmask_b32_e64 v71, v71, v178, s[92:93]                 // 000000007B00: D1000047 01736547
	s_mov_b32 s61, 0x80                                        // 000000007B08: BEBD00FF 00000080
	v_add_i32 v33, v32, s61                                    // 000000007B10: D29C0021 00007B20
	v_cmp_gt_i32_e64 s[90:91], v33, 0                          // 000000007B18: D0C4005A 00010121
	v_cmp_gt_i32_e64 s[92:93], v33, 1                          // 000000007B20: D0C4005C 00010321
	v_cndmask_b32_e64 v72, v72, v178, s[90:91]                 // 000000007B28: D1000048 016B6548
	v_cndmask_b32_e64 v73, v73, v178, s[92:93]                 // 000000007B30: D1000049 01736549
	v_cmp_gt_i32_e64 s[90:91], v33, 2                          // 000000007B38: D0C4005A 00010521
	v_cmp_gt_i32_e64 s[92:93], v33, 3                          // 000000007B40: D0C4005C 00010721
	v_cndmask_b32_e64 v74, v74, v178, s[90:91]                 // 000000007B48: D100004A 016B654A
	v_cndmask_b32_e64 v75, v75, v178, s[92:93]                 // 000000007B50: D100004B 0173654B

0000000000007b58 <label_0EE8>:
	s_cmp_lt_i32 s101, 0xc0                                    // 000000007B58: BF04FF65 000000C0
	s_cbranch_scc0 label_0F61                                  // 000000007B60: BF84006D
	s_cmp_le_i32 s101, 64                                      // 000000007B64: BF05C065
	s_cbranch_scc1 label_0EF4                                  // 000000007B68: BF850007
	s_cmp_le_i32 s101, 0x80                                    // 000000007B6C: BF05FF65 00000080
	s_cbranch_scc1 label_0F18                                  // 000000007B74: BF85001F
	s_cmp_lt_i32 s101, 0xc0                                    // 000000007B78: BF04FF65 000000C0
	s_cbranch_scc1 label_0F3C                                  // 000000007B80: BF850040
	s_branch label_0F61                                        // 000000007B84: BF820064

0000000000007b88 <label_0EF4>:
	s_mov_b32 s60, 0                                           // 000000007B88: BEBC0080
	v_and_b32_e32 v32, 15, v0                                  // 000000007B8C: 2640008F
	v_add_u32_e64 v32, v32, s60                                // 000000007B90: D1340020 00007920
	v_mul_i32_i24_e64 v33, s46, 16                             // 000000007B98: D1060021 0001202E
	v_add_u32_e32 v32, v32, v33                                // 000000007BA0: 68404320
	v_cmp_lt_u32_e64 s[60:61], v32, s101                       // 000000007BA4: D0C9003C 0000CB20
	s_nop 1                                                    // 000000007BAC: BF800001
	v_cndmask_b32_e64 v52, v178, v52, s[60:61]                 // 000000007BB0: D1000034 00F269B2
	v_cndmask_b32_e64 v64, v178, v64, s[60:61]                 // 000000007BB8: D1000040 00F281B2
	v_cndmask_b32_e64 v53, v178, v53, s[60:61]                 // 000000007BC0: D1000035 00F26BB2
	v_cndmask_b32_e64 v65, v178, v65, s[60:61]                 // 000000007BC8: D1000041 00F283B2
	v_cndmask_b32_e64 v54, v178, v54, s[60:61]                 // 000000007BD0: D1000036 00F26DB2
	v_cndmask_b32_e64 v66, v178, v66, s[60:61]                 // 000000007BD8: D1000042 00F285B2
	v_cndmask_b32_e64 v55, v178, v55, s[60:61]                 // 000000007BE0: D1000037 00F26FB2
	v_cndmask_b32_e64 v67, v178, v67, s[60:61]                 // 000000007BE8: D1000043 00F287B2
	s_branch label_0F33                                        // 000000007BF0: BF82001B

0000000000007bf4 <label_0F18>:
	s_mov_b32 s60, 64                                          // 000000007BF4: BEBC00C0
	v_and_b32_e32 v32, 15, v0                                  // 000000007BF8: 2640008F
	v_add_u32_e64 v32, v32, s60                                // 000000007BFC: D1340020 00007920
	v_mul_i32_i24_e64 v33, s46, 16                             // 000000007C04: D1060021 0001202E
	v_add_u32_e32 v32, v32, v33                                // 000000007C0C: 68404320
	v_cmp_lt_u32_e64 s[60:61], v32, s101                       // 000000007C10: D0C9003C 0000CB20
	s_nop 1                                                    // 000000007C18: BF800001
	v_cndmask_b32_e64 v56, v178, v56, s[60:61]                 // 000000007C1C: D1000038 00F271B2
	v_cndmask_b32_e64 v68, v178, v68, s[60:61]                 // 000000007C24: D1000044 00F289B2
	v_cndmask_b32_e64 v57, v178, v57, s[60:61]                 // 000000007C2C: D1000039 00F273B2
	v_cndmask_b32_e64 v69, v178, v69, s[60:61]                 // 000000007C34: D1000045 00F28BB2
	v_cndmask_b32_e64 v58, v178, v58, s[60:61]                 // 000000007C3C: D100003A 00F275B2
	v_cndmask_b32_e64 v70, v178, v70, s[60:61]                 // 000000007C44: D1000046 00F28DB2
	v_cndmask_b32_e64 v59, v178, v59, s[60:61]                 // 000000007C4C: D100003B 00F277B2
	v_cndmask_b32_e64 v71, v178, v71, s[60:61]                 // 000000007C54: D1000047 00F28FB2
	s_branch label_0F58                                        // 000000007C5C: BF820025

0000000000007c60 <label_0F33>:
	v_mov_b32_e32 v56, v178                                    // 000000007C60: 7E7003B2
	v_mov_b32_e32 v68, v178                                    // 000000007C64: 7E8803B2
	v_mov_b32_e32 v57, v178                                    // 000000007C68: 7E7203B2
	v_mov_b32_e32 v69, v178                                    // 000000007C6C: 7E8A03B2
	v_mov_b32_e32 v58, v178                                    // 000000007C70: 7E7403B2
	v_mov_b32_e32 v70, v178                                    // 000000007C74: 7E8C03B2
	v_mov_b32_e32 v59, v178                                    // 000000007C78: 7E7603B2
	v_mov_b32_e32 v71, v178                                    // 000000007C7C: 7E8E03B2
	s_branch label_0F58                                        // 000000007C80: BF82001C

0000000000007c84 <label_0F3C>:
	s_mov_b32 s60, 0x80                                        // 000000007C84: BEBC00FF 00000080
	v_and_b32_e32 v32, 15, v0                                  // 000000007C8C: 2640008F
	v_add_u32_e64 v32, v32, s60                                // 000000007C90: D1340020 00007920
	v_mul_i32_i24_e64 v33, s46, 16                             // 000000007C98: D1060021 0001202E
	v_add_u32_e32 v32, v32, v33                                // 000000007CA0: 68404320
	v_cmp_lt_u32_e64 s[60:61], v32, s101                       // 000000007CA4: D0C9003C 0000CB20
	s_nop 1                                                    // 000000007CAC: BF800001
	v_cndmask_b32_e64 v60, v178, v60, s[60:61]                 // 000000007CB0: D100003C 00F279B2
	v_cndmask_b32_e64 v72, v178, v72, s[60:61]                 // 000000007CB8: D1000048 00F291B2
	v_cndmask_b32_e64 v61, v178, v61, s[60:61]                 // 000000007CC0: D100003D 00F27BB2
	v_cndmask_b32_e64 v73, v178, v73, s[60:61]                 // 000000007CC8: D1000049 00F293B2
	v_cndmask_b32_e64 v62, v178, v62, s[60:61]                 // 000000007CD0: D100003E 00F27DB2
	v_cndmask_b32_e64 v74, v178, v74, s[60:61]                 // 000000007CD8: D100004A 00F295B2
	v_cndmask_b32_e64 v63, v178, v63, s[60:61]                 // 000000007CE0: D100003F 00F27FB2
	v_cndmask_b32_e64 v75, v178, v75, s[60:61]                 // 000000007CE8: D100004B 00F297B2
	s_branch label_0F61                                        // 000000007CF0: BF820009

0000000000007cf4 <label_0F58>:
	v_mov_b32_e32 v60, v178                                    // 000000007CF4: 7E7803B2
	v_mov_b32_e32 v72, v178                                    // 000000007CF8: 7E9003B2
	v_mov_b32_e32 v61, v178                                    // 000000007CFC: 7E7A03B2
	v_mov_b32_e32 v73, v178                                    // 000000007D00: 7E9203B2
	v_mov_b32_e32 v62, v178                                    // 000000007D04: 7E7C03B2
	v_mov_b32_e32 v74, v178                                    // 000000007D08: 7E9403B2
	v_mov_b32_e32 v63, v178                                    // 000000007D0C: 7E7E03B2
	v_mov_b32_e32 v75, v178                                    // 000000007D10: 7E9603B2
	s_branch label_0F61                                        // 000000007D14: BF820000

0000000000007d18 <label_0F61>:
	s_addk_i32 s74, 0x1                                        // 000000007D18: B74A0001
	s_waitcnt lgkmcnt(8)                                       // 000000007D1C: BF8CC87F
	s_barrier                                                  // 000000007D20: BF8A0000
	v_mfma_f32_16x16x16_bf16 v[76:79], v[108:109], a[72:73], 0 // 000000007D24: D3E1004C 1202916C
	v_fma_f32 v52, v52, s57, -v140                             // 000000007D2C: D1CB0034 86307334
	v_fma_f32 v53, v53, s57, -v141                             // 000000007D34: D1CB0035 86347335
	v_fma_f32 v54, v54, s57, -v142                             // 000000007D3C: D1CB0036 86387336
	v_fma_f32 v55, v55, s57, -v143                             // 000000007D44: D1CB0037 863C7337
	v_fma_f32 v56, v56, s57, -v140                             // 000000007D4C: D1CB0038 86307338
	v_fma_f32 v57, v57, s57, -v141                             // 000000007D54: D1CB0039 86347339
	v_mfma_f32_16x16x16_bf16 v[76:79], v[110:111], a[74:75], v[76:79]// 000000007D5C: D3E1004C 1532956E
	ds_read_b128 a[96:99], v14 offset:4352                     // 000000007D64: DBFE1100 6000000E
	ds_read_b128 a[100:103], v14 offset:4864                   // 000000007D6C: DBFE1300 6400000E
	v_mfma_f32_16x16x16_bf16 v[76:79], v[112:113], a[76:77], v[76:79]// 000000007D74: D3E1004C 15329970
	v_fma_f32 v58, v58, s57, -v142                             // 000000007D7C: D1CB003A 8638733A
	v_fma_f32 v59, v59, s57, -v143                             // 000000007D84: D1CB003B 863C733B
	v_fma_f32 v60, v60, s57, -v140                             // 000000007D8C: D1CB003C 8630733C
	v_fma_f32 v61, v61, s57, -v141                             // 000000007D94: D1CB003D 8634733D
	v_fma_f32 v62, v62, s57, -v142                             // 000000007D9C: D1CB003E 8638733E
	v_fma_f32 v63, v63, s57, -v143                             // 000000007DA4: D1CB003F 863C733F
	v_mfma_f32_16x16x16_bf16 v[76:79], v[114:115], a[78:79], v[76:79]// 000000007DAC: D3E1004C 15329D72
	v_fma_f32 v64, v64, s57, -v144                             // 000000007DB4: D1CB0040 86407340
	v_fma_f32 v65, v65, s57, -v145                             // 000000007DBC: D1CB0041 86447341
	v_fma_f32 v66, v66, s57, -v146                             // 000000007DC4: D1CB0042 86487342
	v_fma_f32 v67, v67, s57, -v147                             // 000000007DCC: D1CB0043 864C7343
	v_fma_f32 v68, v68, s57, -v144                             // 000000007DD4: D1CB0044 86407344
	v_fma_f32 v69, v69, s57, -v145                             // 000000007DDC: D1CB0045 86447345
	v_mfma_f32_16x16x16_bf16 v[80:83], v[108:109], a[80:81], 0 // 000000007DE4: D3E10050 1202A16C
	v_fma_f32 v70, v70, s57, -v146                             // 000000007DEC: D1CB0046 86487346
	v_fma_f32 v71, v71, s57, -v147                             // 000000007DF4: D1CB0047 864C7347
	v_fma_f32 v72, v72, s57, -v144                             // 000000007DFC: D1CB0048 86407348
	v_fma_f32 v73, v73, s57, -v145                             // 000000007E04: D1CB0049 86447349
	v_fma_f32 v74, v74, s57, -v146                             // 000000007E0C: D1CB004A 8648734A
	v_fma_f32 v75, v75, s57, -v147                             // 000000007E14: D1CB004B 864C734B
	v_mfma_f32_16x16x16_bf16 v[80:83], v[110:111], a[82:83], v[80:83]// 000000007E1C: D3E10050 1542A56E
	ds_read_b128 a[104:107], v14 offset:6528                   // 000000007E24: DBFE1980 6800000E
	ds_read_b128 a[108:111], v14 offset:7040                   // 000000007E2C: DBFE1B80 6C00000E
	v_mfma_f32_16x16x16_bf16 v[80:83], v[112:113], a[84:85], v[80:83]// 000000007E34: D3E10050 1542A970
	v_exp_f32_e32 v52, v52                                     // 000000007E3C: 7E684134
	v_exp_f32_e32 v53, v53                                     // 000000007E40: 7E6A4135
	v_mfma_f32_16x16x16_bf16 v[80:83], v[114:115], a[86:87], v[80:83]// 000000007E44: D3E10050 1542AD72
	v_exp_f32_e32 v54, v54                                     // 000000007E4C: 7E6C4136
	v_exp_f32_e32 v55, v55                                     // 000000007E50: 7E6E4137
	v_mfma_f32_16x16x16_bf16 v[84:87], v[108:109], a[88:89], 0 // 000000007E54: D3E10054 1202B16C
	v_exp_f32_e32 v56, v56                                     // 000000007E5C: 7E704138
	v_exp_f32_e32 v57, v57                                     // 000000007E60: 7E724139
	v_mfma_f32_16x16x16_bf16 v[84:87], v[110:111], a[90:91], v[84:87]// 000000007E64: D3E10054 1552B56E
	ds_read_b64 v[156:157], v21 offset:31232                   // 000000007E6C: D8EC7A00 9C000015
	ds_read_b64 v[158:159], v21 offset:33280                   // 000000007E74: D8EC8200 9E000015
	v_mfma_f32_16x16x16_bf16 v[84:87], v[112:113], a[92:93], v[84:87]// 000000007E7C: D3E10054 1552B970
	v_exp_f32_e32 v58, v58                                     // 000000007E84: 7E74413A
	v_exp_f32_e32 v59, v59                                     // 000000007E88: 7E76413B
	v_mfma_f32_16x16x16_bf16 v[84:87], v[114:115], a[94:95], v[84:87]// 000000007E8C: D3E10054 1552BD72
	ds_read_b64 v[160:161], v21 offset:35328                   // 000000007E94: D8EC8A00 A0000015
	ds_read_b64 v[162:163], v21 offset:37376                   // 000000007E9C: D8EC9200 A2000015
	v_mfma_f32_16x16x16_bf16 v[88:91], v[116:117], a[72:73], 0 // 000000007EA4: D3E10058 12029174
	v_exp_f32_e32 v60, v60                                     // 000000007EAC: 7E78413C
	v_exp_f32_e32 v61, v61                                     // 000000007EB0: 7E7A413D
	v_mfma_f32_16x16x16_bf16 v[88:91], v[118:119], a[74:75], v[88:91]// 000000007EB4: D3E10058 15629576
	v_exp_f32_e32 v62, v62                                     // 000000007EBC: 7E7C413E
	v_exp_f32_e32 v63, v63                                     // 000000007EC0: 7E7E413F
	v_mfma_f32_16x16x16_bf16 v[88:91], v[120:121], a[76:77], v[88:91]// 000000007EC4: D3E10058 15629978
	v_exp_f32_e32 v64, v64                                     // 000000007ECC: 7E804140
	v_exp_f32_e32 v65, v65                                     // 000000007ED0: 7E824141
	v_mfma_f32_16x16x16_bf16 v[88:91], v[122:123], a[78:79], v[88:91]// 000000007ED4: D3E10058 15629D7A
	v_exp_f32_e32 v66, v66                                     // 000000007EDC: 7E844142
	v_exp_f32_e32 v67, v67                                     // 000000007EE0: 7E864143
	v_mfma_f32_16x16x16_bf16 v[92:95], v[116:117], a[80:81], 0 // 000000007EE4: D3E1005C 1202A174
	v_exp_f32_e32 v68, v68                                     // 000000007EEC: 7E884144
	v_exp_f32_e32 v69, v69                                     // 000000007EF0: 7E8A4145
	v_mfma_f32_16x16x16_bf16 v[92:95], v[118:119], a[82:83], v[92:95]// 000000007EF4: D3E1005C 1572A576
	v_exp_f32_e32 v70, v70                                     // 000000007EFC: 7E8C4146
	v_exp_f32_e32 v71, v71                                     // 000000007F00: 7E8E4147
	v_mfma_f32_16x16x16_bf16 v[92:95], v[120:121], a[84:85], v[92:95]// 000000007F04: D3E1005C 1572A978
	v_exp_f32_e32 v72, v72                                     // 000000007F0C: 7E904148
	v_exp_f32_e32 v73, v73                                     // 000000007F10: 7E924149
	v_mfma_f32_16x16x16_bf16 v[92:95], v[122:123], a[86:87], v[92:95]// 000000007F14: D3E1005C 1572AD7A
	v_exp_f32_e32 v74, v74                                     // 000000007F1C: 7E94414A
	v_exp_f32_e32 v75, v75                                     // 000000007F20: 7E96414B
	v_mfma_f32_16x16x16_bf16 v[96:99], v[116:117], a[88:89], 0 // 000000007F24: D3E10060 1202B174
	v_perm_b32 v164, v53, v52, s64                             // 000000007F2C: D1ED00A4 01026935
	v_perm_b32 v165, v55, v54, s64                             // 000000007F34: D1ED00A5 01026D37
	v_perm_b32 v166, v57, v56, s64                             // 000000007F3C: D1ED00A6 01027139
	v_perm_b32 v167, v59, v58, s64                             // 000000007F44: D1ED00A7 0102753B
	v_perm_b32 v168, v61, v60, s64                             // 000000007F4C: D1ED00A8 0102793D
	v_perm_b32 v169, v63, v62, s64                             // 000000007F54: D1ED00A9 01027D3F
	v_mfma_f32_16x16x16_bf16 v[96:99], v[118:119], a[90:91], v[96:99]// 000000007F5C: D3E10060 1582B576
	v_perm_b32 v170, v65, v64, s64                             // 000000007F64: D1ED00AA 01028141
	v_perm_b32 v171, v67, v66, s64                             // 000000007F6C: D1ED00AB 01028543
	v_perm_b32 v172, v69, v68, s64                             // 000000007F74: D1ED00AC 01028945
	v_perm_b32 v173, v71, v70, s64                             // 000000007F7C: D1ED00AD 01028D47
	v_perm_b32 v174, v73, v72, s64                             // 000000007F84: D1ED00AE 01029149
	v_perm_b32 v175, v75, v74, s64                             // 000000007F8C: D1ED00AF 0102954B
	v_mfma_f32_16x16x16_bf16 v[96:99], v[120:121], a[92:93], v[96:99]// 000000007F94: D3E10060 1582B978
	v_add_u32_e32 v6, s66, v6                                  // 000000007F9C: 680C0C42
	v_add_u32_e32 v7, s66, v7                                  // 000000007FA0: 680E0E42
	v_add_u32_e32 v8, s66, v8                                  // 000000007FA4: 68101042
	v_add_u32_e32 v9, s66, v9                                  // 000000007FA8: 68121242
	v_mfma_f32_16x16x16_bf16 v[96:99], v[122:123], a[94:95], v[96:99]// 000000007FAC: D3E10060 1582BD7A
	s_waitcnt lgkmcnt(0)                                       // 000000007FB4: BF8CC07F
	s_barrier                                                  // 000000007FB8: BF8A0000
	v_mfma_f32_16x16x16_bf16 v[180:183], v[124:125], v[164:165], v[180:183]// 000000007FBC: D3E100B4 06D3497C
	v_subrev_f32_dpp v76, v176, v76 quad_perm:[0,0,0,0] row_mask:0xf bank_mask:0xf// 000000007FC4: 069898FA FF0000B0
	v_subrev_f32_dpp v77, v176, v77 quad_perm:[1,1,1,1] row_mask:0xf bank_mask:0xf// 000000007FCC: 069A9AFA FF0055B0
	v_subrev_f32_dpp v78, v176, v78 quad_perm:[2,2,2,2] row_mask:0xf bank_mask:0xf// 000000007FD4: 069C9CFA FF00AAB0
	v_subrev_f32_dpp v79, v176, v79 quad_perm:[3,3,3,3] row_mask:0xf bank_mask:0xf// 000000007FDC: 069E9EFA FF00FFB0
	v_subrev_f32_dpp v80, v176, v80 quad_perm:[0,0,0,0] row_mask:0xf bank_mask:0xf// 000000007FE4: 06A0A0FA FF0000B0
	v_subrev_f32_dpp v81, v176, v81 quad_perm:[1,1,1,1] row_mask:0xf bank_mask:0xf// 000000007FEC: 06A2A2FA FF0055B0
	v_mfma_f32_16x16x16_bf16 v[184:187], v[126:127], v[164:165], v[184:187]// 000000007FF4: D3E100B8 06E3497E
	v_subrev_f32_dpp v82, v176, v82 quad_perm:[2,2,2,2] row_mask:0xf bank_mask:0xf// 000000007FFC: 06A4A4FA FF00AAB0
	v_subrev_f32_dpp v83, v176, v83 quad_perm:[3,3,3,3] row_mask:0xf bank_mask:0xf// 000000008004: 06A6A6FA FF00FFB0
	v_subrev_f32_dpp v84, v176, v84 quad_perm:[0,0,0,0] row_mask:0xf bank_mask:0xf// 00000000800C: 06A8A8FA FF0000B0
	v_subrev_f32_dpp v85, v176, v85 quad_perm:[1,1,1,1] row_mask:0xf bank_mask:0xf// 000000008014: 06AAAAFA FF0055B0
	v_subrev_f32_dpp v86, v176, v86 quad_perm:[2,2,2,2] row_mask:0xf bank_mask:0xf// 00000000801C: 06ACACFA FF00AAB0
	v_subrev_f32_dpp v87, v176, v87 quad_perm:[3,3,3,3] row_mask:0xf bank_mask:0xf// 000000008024: 06AEAEFA FF00FFB0
	v_mfma_f32_16x16x16_bf16 v[188:191], v[128:129], v[164:165], v[188:191]// 00000000802C: D3E100BC 06F34980
	v_mul_f32_e32 v76, v52, v76                                // 000000008034: 0A989934
	v_mul_f32_e32 v77, v53, v77                                // 000000008038: 0A9A9B35
	v_mul_f32_e32 v78, v54, v78                                // 00000000803C: 0A9C9D36
	v_mul_f32_e32 v79, v55, v79                                // 000000008040: 0A9E9F37
	v_mul_f32_e32 v80, v56, v80                                // 000000008044: 0AA0A138
	v_mul_f32_e32 v81, v57, v81                                // 000000008048: 0AA2A339
	v_mfma_f32_16x16x16_bf16 v[192:195], v[130:131], v[164:165], v[192:195]// 00000000804C: D3E100C0 07034982
	v_mul_f32_e32 v82, v58, v82                                // 000000008054: 0AA4A53A
	v_mul_f32_e32 v83, v59, v83                                // 000000008058: 0AA6A73B
	v_mul_f32_e32 v84, v60, v84                                // 00000000805C: 0AA8A93C
	v_mul_f32_e32 v85, v61, v85                                // 000000008060: 0AAAAB3D
	v_mul_f32_e32 v86, v62, v86                                // 000000008064: 0AACAD3E
	v_mul_f32_e32 v87, v63, v87                                // 000000008068: 0AAEAF3F
	v_mfma_f32_16x16x16_bf16 v[196:199], v[124:125], v[166:167], v[196:199]// 00000000806C: D3E100C4 07134D7C
	v_perm_b32 v76, v77, v76, s64                              // 000000008074: D1ED004C 0102994D
	v_perm_b32 v77, v79, v78, s64                              // 00000000807C: D1ED004D 01029D4F
	v_perm_b32 v78, v81, v80, s64                              // 000000008084: D1ED004E 0102A151
	v_perm_b32 v79, v83, v82, s64                              // 00000000808C: D1ED004F 0102A553
	v_perm_b32 v80, v85, v84, s64                              // 000000008094: D1ED0050 0102A955
	v_perm_b32 v81, v87, v86, s64                              // 00000000809C: D1ED0051 0102AD57
	v_mfma_f32_16x16x16_bf16 v[200:203], v[126:127], v[166:167], v[200:203]// 0000000080A4: D3E100C8 07234D7E
	v_mov_b32_dpp v18, v76 quad_perm:[1,0,3,2] row_mask:0xf bank_mask:0xf// 0000000080AC: 7E2402FA FF00B14C
	v_perm_b32 v52, v18, v76, v17                              // 0000000080B4: D1ED0034 04469912
	v_mov_b32_dpp v18, v77 quad_perm:[1,0,3,2] row_mask:0xf bank_mask:0xf// 0000000080BC: 7E2402FA FF00B14D
	v_perm_b32 v53, v18, v77, v17                              // 0000000080C4: D1ED0035 04469B12
	v_mov_b32_dpp v18, v78 quad_perm:[1,0,3,2] row_mask:0xf bank_mask:0xf// 0000000080CC: 7E2402FA FF00B14E
	v_perm_b32 v54, v18, v78, v17                              // 0000000080D4: D1ED0036 04469D12
	v_mfma_f32_16x16x16_bf16 v[204:207], v[128:129], v[166:167], v[204:207]// 0000000080DC: D3E100CC 07334D80
	ds_write_b32 v20, v52 offset:17408                         // 0000000080E4: D81A4400 00003414
	ds_write_b32 v20, v53 offset:17952                         // 0000000080EC: D81A4620 00003514
	v_mfma_f32_16x16x16_bf16 v[208:211], v[130:131], v[166:167], v[208:211]// 0000000080F4: D3E100D0 07434D82
	v_mov_b32_dpp v18, v79 quad_perm:[1,0,3,2] row_mask:0xf bank_mask:0xf// 0000000080FC: 7E2402FA FF00B14F
	v_perm_b32 v55, v18, v79, v17                              // 000000008104: D1ED0037 04469F12
	v_mov_b32_dpp v18, v80 quad_perm:[1,0,3,2] row_mask:0xf bank_mask:0xf// 00000000810C: 7E2402FA FF00B150
	v_perm_b32 v56, v18, v80, v17                              // 000000008114: D1ED0038 0446A112
	v_mov_b32_dpp v18, v81 quad_perm:[1,0,3,2] row_mask:0xf bank_mask:0xf// 00000000811C: 7E2402FA FF00B151
	v_perm_b32 v57, v18, v81, v17                              // 000000008124: D1ED0039 0446A312
	v_mfma_f32_16x16x16_bf16 v[212:215], v[124:125], v[168:169], v[212:215]// 00000000812C: D3E100D4 0753517C
	ds_write_b32 v20, v54 offset:19712                         // 000000008134: D81A4D00 00003614
	ds_write_b32 v20, v55 offset:20256                         // 00000000813C: D81A4F20 00003714
	v_mfma_f32_16x16x16_bf16 v[216:219], v[126:127], v[168:169], v[216:219]// 000000008144: D3E100D8 0763517E
	v_subrev_f32_dpp v88, v177, v88 quad_perm:[0,0,0,0] row_mask:0xf bank_mask:0xf// 00000000814C: 06B0B0FA FF0000B1
	v_subrev_f32_dpp v89, v177, v89 quad_perm:[1,1,1,1] row_mask:0xf bank_mask:0xf// 000000008154: 06B2B2FA FF0055B1
	v_subrev_f32_dpp v90, v177, v90 quad_perm:[2,2,2,2] row_mask:0xf bank_mask:0xf// 00000000815C: 06B4B4FA FF00AAB1
	v_subrev_f32_dpp v91, v177, v91 quad_perm:[3,3,3,3] row_mask:0xf bank_mask:0xf// 000000008164: 06B6B6FA FF00FFB1
	v_subrev_f32_dpp v92, v177, v92 quad_perm:[0,0,0,0] row_mask:0xf bank_mask:0xf// 00000000816C: 06B8B8FA FF0000B1
	v_subrev_f32_dpp v93, v177, v93 quad_perm:[1,1,1,1] row_mask:0xf bank_mask:0xf// 000000008174: 06BABAFA FF0055B1
	v_mfma_f32_16x16x16_bf16 v[220:223], v[128:129], v[168:169], v[220:223]// 00000000817C: D3E100DC 07735180
	ds_write_b32 v20, v56 offset:22016                         // 000000008184: D81A5600 00003814
	ds_write_b32 v20, v57 offset:22560                         // 00000000818C: D81A5820 00003914
	v_mfma_f32_16x16x16_bf16 v[224:227], v[130:131], v[168:169], v[224:227]// 000000008194: D3E100E0 07835182
	v_subrev_f32_dpp v94, v177, v94 quad_perm:[2,2,2,2] row_mask:0xf bank_mask:0xf// 00000000819C: 06BCBCFA FF00AAB1
	v_subrev_f32_dpp v95, v177, v95 quad_perm:[3,3,3,3] row_mask:0xf bank_mask:0xf// 0000000081A4: 06BEBEFA FF00FFB1
	v_subrev_f32_dpp v96, v177, v96 quad_perm:[0,0,0,0] row_mask:0xf bank_mask:0xf// 0000000081AC: 06C0C0FA FF0000B1
	v_subrev_f32_dpp v97, v177, v97 quad_perm:[1,1,1,1] row_mask:0xf bank_mask:0xf// 0000000081B4: 06C2C2FA FF0055B1
	v_subrev_f32_dpp v98, v177, v98 quad_perm:[2,2,2,2] row_mask:0xf bank_mask:0xf// 0000000081BC: 06C4C4FA FF00AAB1
	v_subrev_f32_dpp v99, v177, v99 quad_perm:[3,3,3,3] row_mask:0xf bank_mask:0xf// 0000000081C4: 06C6C6FA FF00FFB1
	v_mfma_f32_16x16x16_bf16 v[180:183], v[132:133], v[170:171], v[180:183]// 0000000081CC: D3E100B4 06D35584
	v_mul_f32_e32 v88, v64, v88                                // 0000000081D4: 0AB0B140
	v_mul_f32_e32 v89, v65, v89                                // 0000000081D8: 0AB2B341
	v_mul_f32_e32 v90, v66, v90                                // 0000000081DC: 0AB4B542
	v_mul_f32_e32 v91, v67, v91                                // 0000000081E0: 0AB6B743
	v_mul_f32_e32 v92, v68, v92                                // 0000000081E4: 0AB8B944
	v_mul_f32_e32 v93, v69, v93                                // 0000000081E8: 0ABABB45
	v_mfma_f32_16x16x16_bf16 v[184:187], v[134:135], v[170:171], v[184:187]// 0000000081EC: D3E100B8 06E35586
	v_mul_f32_e32 v94, v70, v94                                // 0000000081F4: 0ABCBD46
	v_mul_f32_e32 v95, v71, v95                                // 0000000081F8: 0ABEBF47
	v_mul_f32_e32 v96, v72, v96                                // 0000000081FC: 0AC0C148
	v_mul_f32_e32 v97, v73, v97                                // 000000008200: 0AC2C349
	v_mul_f32_e32 v98, v74, v98                                // 000000008204: 0AC4C54A
	v_mul_f32_e32 v99, v75, v99                                // 000000008208: 0AC6C74B
	v_mfma_f32_16x16x16_bf16 v[188:191], v[136:137], v[170:171], v[188:191]// 00000000820C: D3E100BC 06F35588
	v_perm_b32 v82, v89, v88, s64                              // 000000008214: D1ED0052 0102B159
	v_perm_b32 v83, v91, v90, s64                              // 00000000821C: D1ED0053 0102B55B
	v_perm_b32 v84, v93, v92, s64                              // 000000008224: D1ED0054 0102B95D
	v_perm_b32 v85, v95, v94, s64                              // 00000000822C: D1ED0055 0102BD5F
	v_perm_b32 v86, v97, v96, s64                              // 000000008234: D1ED0056 0102C161
	v_perm_b32 v87, v99, v98, s64                              // 00000000823C: D1ED0057 0102C563
	v_mfma_f32_16x16x16_bf16 v[192:195], v[138:139], v[170:171], v[192:195]// 000000008244: D3E100C0 0703558A
	v_mov_b32_dpp v18, v82 quad_perm:[1,0,3,2] row_mask:0xf bank_mask:0xf// 00000000824C: 7E2402FA FF00B152
	v_perm_b32 v58, v18, v82, v17                              // 000000008254: D1ED003A 0446A512
	v_mov_b32_dpp v18, v83 quad_perm:[1,0,3,2] row_mask:0xf bank_mask:0xf// 00000000825C: 7E2402FA FF00B153
	v_perm_b32 v59, v18, v83, v17                              // 000000008264: D1ED003B 0446A712
	v_mov_b32_dpp v18, v84 quad_perm:[1,0,3,2] row_mask:0xf bank_mask:0xf// 00000000826C: 7E2402FA FF00B154
	v_perm_b32 v60, v18, v84, v17                              // 000000008274: D1ED003C 0446A912
	v_mfma_f32_16x16x16_bf16 v[196:199], v[132:133], v[172:173], v[196:199]// 00000000827C: D3E100C4 07135984
	ds_write_b32 v20, v58 offset:24320                         // 000000008284: D81A5F00 00003A14
	ds_write_b32 v20, v59 offset:24864                         // 00000000828C: D81A6120 00003B14
	v_mfma_f32_16x16x16_bf16 v[200:203], v[134:135], v[172:173], v[200:203]// 000000008294: D3E100C8 07235986
	v_mov_b32_dpp v18, v85 quad_perm:[1,0,3,2] row_mask:0xf bank_mask:0xf// 00000000829C: 7E2402FA FF00B155
	v_perm_b32 v61, v18, v85, v17                              // 0000000082A4: D1ED003D 0446AB12
	v_mov_b32_dpp v18, v86 quad_perm:[1,0,3,2] row_mask:0xf bank_mask:0xf// 0000000082AC: 7E2402FA FF00B156
	v_perm_b32 v62, v18, v86, v17                              // 0000000082B4: D1ED003E 0446AD12
	v_mov_b32_dpp v18, v87 quad_perm:[1,0,3,2] row_mask:0xf bank_mask:0xf// 0000000082BC: 7E2402FA FF00B157
	v_perm_b32 v63, v18, v87, v17                              // 0000000082C4: D1ED003F 0446AF12
	v_mfma_f32_16x16x16_bf16 v[204:207], v[136:137], v[172:173], v[204:207]// 0000000082CC: D3E100CC 07335988
	ds_write_b32 v20, v60 offset:26624                         // 0000000082D4: D81A6800 00003C14
	ds_write_b32 v20, v61 offset:27168                         // 0000000082DC: D81A6A20 00003D14
	ds_write_b32 v20, v62 offset:28928                         // 0000000082E4: D81A7100 00003E14
	ds_write_b32 v20, v63 offset:29472                         // 0000000082EC: D81A7320 00003F14
	v_mfma_f32_16x16x16_bf16 v[208:211], v[138:139], v[172:173], v[208:211]// 0000000082F4: D3E100D0 0743598A
	v_mfma_f32_16x16x16_bf16 v[212:215], v[132:133], v[174:175], v[212:215]// 0000000082FC: D3E100D4 07535D84
	ds_write_b32 v15, v100 offset:4352                         // 000000008304: D81A1100 0000640F
	ds_write_b32 v15, v101 offset:5408                         // 00000000830C: D81A1520 0000650F
	v_mfma_f32_16x16x16_bf16 v[216:219], v[134:135], v[174:175], v[216:219]// 000000008314: D3E100D8 07635D86
	v_mfma_f32_16x16x16_bf16 v[220:223], v[136:137], v[174:175], v[220:223]// 00000000831C: D3E100DC 07735D88
	ds_write_b32 v15, v102 offset:6528                         // 000000008324: D81A1980 0000660F
	ds_write_b32 v15, v103 offset:7584                         // 00000000832C: D81A1DA0 0000670F
	v_mfma_f32_16x16x16_bf16 v[224:227], v[138:139], v[174:175], v[224:227]// 000000008334: D3E100E0 07835D8A
	s_nop 0                                                    // 00000000833C: BF800000
	s_nop 0                                                    // 000000008340: BF800000
	s_nop 0                                                    // 000000008344: BF800000
	s_barrier                                                  // 000000008348: BF8A0000
	v_mfma_f32_16x16x16_bf16 a[112:115], a[96:97], v[76:77], a[112:115]// 00000000834C: D3E18070 0DC29960
	ds_read_b32 v140, v23 offset:39936                         // 000000008354: D86C9C00 8C000017
	ds_read_b32 v144, v23 offset:40000                         // 00000000835C: D86C9C40 90000017
	ds_read_b32 v176, v23 offset:40192                         // 000000008364: D86C9D00 B0000017
	ds_read_b32 v177, v23 offset:40256                         // 00000000836C: D86C9D40 B1000017
	v_mfma_f32_16x16x16_bf16 a[116:119], a[98:99], v[76:77], a[116:119]// 000000008374: D3E18074 0DD29962
	buffer_atomic_add_f32 v156, v6, s[32:35], 0 idxen          // 00000000837C: E1342000 80089C06
	v_mfma_f32_16x16x16_bf16 a[120:123], a[100:101], v[76:77], a[120:123]// 000000008384: D3E18078 0DE29964
	s_waitcnt lgkmcnt(8)                                       // 00000000838C: BF8CC87F
	s_barrier                                                  // 000000008390: BF8A0000
	v_mfma_f32_16x16x16_bf16 a[124:127], a[102:103], v[76:77], a[124:127]// 000000008394: D3E1807C 0DF29966
	v_mfma_f32_16x16x16_bf16 a[128:131], a[96:97], v[78:79], a[128:131]// 00000000839C: D3E18080 0E029D60
	ds_read_b128 v[52:55], v19 offset:17408                    // 0000000083A4: D9FE4400 34000013
	v_mfma_f32_16x16x16_bf16 a[132:135], a[98:99], v[78:79], a[132:135]// 0000000083AC: D3E18084 0E129D62
	v_mfma_f32_16x16x16_bf16 a[136:139], a[100:101], v[78:79], a[136:139]// 0000000083B4: D3E18088 0E229D64
	ds_read_b128 v[56:59], v19 offset:18560                    // 0000000083BC: D9FE4880 38000013
	v_mfma_f32_16x16x16_bf16 a[140:143], a[102:103], v[78:79], a[140:143]// 0000000083C4: D3E1808C 0E329D66
	buffer_atomic_add_f32 v157, v7, s[32:35], 0 idxen          // 0000000083CC: E1342000 80089D07
	v_mfma_f32_16x16x16_bf16 a[144:147], a[96:97], v[80:81], a[144:147]// 0000000083D4: D3E18090 0E42A160
	ds_read_b128 v[60:63], v19 offset:19712                    // 0000000083DC: D9FE4D00 3C000013
	v_mfma_f32_16x16x16_bf16 a[148:151], a[98:99], v[80:81], a[148:151]// 0000000083E4: D3E18094 0E52A162
	v_mfma_f32_16x16x16_bf16 a[152:155], a[100:101], v[80:81], a[152:155]// 0000000083EC: D3E18098 0E62A164
	ds_read_b128 v[64:67], v19 offset:20864                    // 0000000083F4: D9FE5180 40000013
	v_mfma_f32_16x16x16_bf16 a[156:159], a[102:103], v[80:81], a[156:159]// 0000000083FC: D3E1809C 0E72A166
	v_mfma_f32_16x16x16_bf16 a[112:115], a[104:105], v[82:83], a[112:115]// 000000008404: D3E18070 0DC2A568
	ds_read_b128 v[68:71], v19 offset:22016                    // 00000000840C: D9FE5600 44000013
	v_mfma_f32_16x16x16_bf16 a[116:119], a[106:107], v[82:83], a[116:119]// 000000008414: D3E18074 0DD2A56A
	buffer_atomic_add_f32 v158, v6, s[32:35], 0 idxen offset:128// 00000000841C: E1342080 80089E06
	v_mfma_f32_16x16x16_bf16 a[120:123], a[108:109], v[82:83], a[120:123]// 000000008424: D3E18078 0DE2A56C
	ds_read_b128 v[72:75], v19 offset:23168                    // 00000000842C: D9FE5A80 48000013
	v_mfma_f32_16x16x16_bf16 a[124:127], a[110:111], v[82:83], a[124:127]// 000000008434: D3E1807C 0DF2A56E
	v_mfma_f32_16x16x16_bf16 a[128:131], a[104:105], v[84:85], a[128:131]// 00000000843C: D3E18080 0E02A968
	ds_write_b32 v15, v104 offset:13056                        // 000000008444: D81A3300 0000680F
	v_mfma_f32_16x16x16_bf16 a[132:135], a[106:107], v[84:85], a[132:135]// 00000000844C: D3E18084 0E12A96A
	v_mfma_f32_16x16x16_bf16 a[136:139], a[108:109], v[84:85], a[136:139]// 000000008454: D3E18088 0E22A96C
	ds_write_b32 v15, v105 offset:14112                        // 00000000845C: D81A3720 0000690F
	v_mfma_f32_16x16x16_bf16 a[140:143], a[110:111], v[84:85], a[140:143]// 000000008464: D3E1808C 0E32A96E
	buffer_atomic_add_f32 v159, v7, s[32:35], 0 idxen offset:128// 00000000846C: E1342080 80089F07
	v_mfma_f32_16x16x16_bf16 a[144:147], a[104:105], v[86:87], a[144:147]// 000000008474: D3E18090 0E42AD68
	ds_write_b32 v15, v106 offset:15232                        // 00000000847C: D81A3B80 00006A0F
	v_mfma_f32_16x16x16_bf16 a[148:151], a[106:107], v[86:87], a[148:151]// 000000008484: D3E18094 0E52AD6A
	v_mfma_f32_16x16x16_bf16 a[152:155], a[108:109], v[86:87], a[152:155]// 00000000848C: D3E18098 0E62AD6C
	ds_write_b32 v15, v107 offset:16288                        // 000000008494: D81A3FA0 00006B0F
	v_mfma_f32_16x16x16_bf16 a[156:159], a[110:111], v[86:87], a[156:159]// 00000000849C: D3E1809C 0E72AD6E
	s_waitcnt vmcnt(8) lgkmcnt(4)                              // 0000000084A4: BF8C0478
	s_barrier                                                  // 0000000084A8: BF8A0000
	v_mfma_f32_16x16x16_bf16 v[148:151], v[52:53], a[24:25], 0 // 0000000084AC: D3E10094 12023134
	ds_read_b128 a[96:99], v12                                 // 0000000084B4: DBFE0000 6000000C
	buffer_load_dword v40, v1, s[8:11], 0 idxen                // 0000000084BC: E0502000 80022801
	v_mfma_f32_16x16x16_bf16 v[148:151], v[54:55], a[28:29], v[148:151]// 0000000084C4: D3E10094 16523936
	v_mul_f32_e32 v140, s48, v140                              // 0000000084CC: 0B191830
	v_mul_f32_e32 v144, s48, v144                              // 0000000084D0: 0B212030
	s_nop 0                                                    // 0000000084D4: BF800000
	v_mfma_f32_16x16x16_bf16 v[148:151], v[56:57], a[32:33], v[148:151]// 0000000084D8: D3E10094 16524138
	ds_read_b128 a[100:103], v12 offset:512                    // 0000000084E0: DBFE0200 6400000C
	buffer_load_dword v41, v2, s[8:11], 0 idxen                // 0000000084E8: E0502000 80022902
	v_mfma_f32_16x16x16_bf16 v[148:151], v[58:59], a[36:37], v[148:151]// 0000000084F0: D3E10094 1652493A
	v_mfma_f32_16x16x16_bf16 v[148:151], v[60:61], a[40:41], v[148:151]// 0000000084F8: D3E10094 1652513C
	ds_read_b128 a[104:107], v12 offset:2176                   // 000000008500: DBFE0880 6800000C
	buffer_load_dword v42, v3, s[8:11], 0 idxen                // 000000008508: E0502000 80022A03
	v_mfma_f32_16x16x16_bf16 v[148:151], v[62:63], a[44:45], v[148:151]// 000000008510: D3E10094 1652593E
	v_perm_b32 v100, v37, v36, s63                             // 000000008518: D1ED0064 00FE4925
	v_perm_b32 v101, v37, v36, s64                             // 000000008520: D1ED0065 01024925
	v_mfma_f32_16x16x16_bf16 v[148:151], v[64:65], a[48:49], v[148:151]// 000000008528: D3E10094 16526140
	ds_read_b128 a[108:111], v12 offset:2688                   // 000000008530: DBFE0A80 6C00000C
	buffer_load_dword v43, v4, s[8:11], 0 idxen                // 000000008538: E0502000 80022B04
	v_mfma_f32_16x16x16_bf16 v[148:151], v[66:67], a[52:53], v[148:151]// 000000008540: D3E10094 16526942
	v_perm_b32 v102, v39, v38, s63                             // 000000008548: D1ED0066 00FE4D27
	v_perm_b32 v103, v39, v38, s64                             // 000000008550: D1ED0067 01024D27
	v_mfma_f32_16x16x16_bf16 v[148:151], v[68:69], a[56:57], v[148:151]// 000000008558: D3E10094 16527144
	ds_read_b128 v[108:111], v12 offset:8704                   // 000000008560: D9FE2200 6C00000C
	buffer_load_dword v48, v232, s[20:23], 0 idxen             // 000000008568: E0502000 800530E8
	v_mfma_f32_16x16x16_bf16 v[148:151], v[70:71], a[60:61], v[148:151]// 000000008570: D3E10094 16527946
	v_perm_b32 v104, v45, v44, s63                             // 000000008578: D1ED0068 00FE592D
	v_perm_b32 v105, v45, v44, s64                             // 000000008580: D1ED0069 0102592D
	v_mfma_f32_16x16x16_bf16 v[148:151], v[72:73], a[64:65], v[148:151]// 000000008588: D3E10094 16528148
	ds_read_b128 v[112:115], v12 offset:9216                   // 000000008590: D9FE2400 7000000C
	buffer_load_dword v49, v233, s[20:23], 0 idxen             // 000000008598: E0502000 800531E9
	v_mfma_f32_16x16x16_bf16 v[148:151], v[74:75], a[68:69], v[148:151]// 0000000085A0: D3E10094 1652894A
	v_perm_b32 v106, v47, v46, s63                             // 0000000085A8: D1ED006A 00FE5D2F
	v_perm_b32 v107, v47, v46, s64                             // 0000000085B0: D1ED006B 01025D2F
	v_mfma_f32_16x16x16_bf16 v[152:155], v[52:53], a[26:27], 0 // 0000000085B8: D3E10098 12023534
	ds_read_b128 v[116:119], v12 offset:10880                  // 0000000085C0: D9FE2A80 7400000C
	buffer_load_dword v50, v234, s[20:23], 0 idxen             // 0000000085C8: E0502000 800532EA
	v_mfma_f32_16x16x16_bf16 v[152:155], v[54:55], a[30:31], v[152:155]// 0000000085D0: D3E10098 16623D36
	v_mov_b32_dpp v143, v140 quad_perm:[3,3,3,3] row_mask:0xf bank_mask:0xf// 0000000085D8: 7F1E02FA FF00FF8C
	v_mov_b32_dpp v142, v140 quad_perm:[2,2,2,2] row_mask:0xf bank_mask:0xf// 0000000085E0: 7F1C02FA FF00AA8C
	v_mov_b32_dpp v141, v140 quad_perm:[1,1,1,1] row_mask:0xf bank_mask:0xf// 0000000085E8: 7F1A02FA FF00558C
	v_mov_b32_dpp v140, v140 quad_perm:[0,0,0,0] row_mask:0xf bank_mask:0xf// 0000000085F0: 7F1802FA FF00008C
	v_mfma_f32_16x16x16_bf16 v[152:155], v[56:57], a[34:35], v[152:155]// 0000000085F8: D3E10098 16624538
	ds_read_b128 v[120:123], v12 offset:11392                  // 000000008600: D9FE2C80 7800000C
	buffer_load_dword v51, v235, s[20:23], 0 idxen             // 000000008608: E0502000 800533EB
	v_mfma_f32_16x16x16_bf16 v[152:155], v[58:59], a[38:39], v[152:155]// 000000008610: D3E10098 16624D3A
	v_mov_b32_dpp v147, v144 quad_perm:[3,3,3,3] row_mask:0xf bank_mask:0xf// 000000008618: 7F2602FA FF00FF90
	v_mov_b32_dpp v146, v144 quad_perm:[2,2,2,2] row_mask:0xf bank_mask:0xf// 000000008620: 7F2402FA FF00AA90
	v_mov_b32_dpp v145, v144 quad_perm:[1,1,1,1] row_mask:0xf bank_mask:0xf// 000000008628: 7F2202FA FF005590
	v_mov_b32_dpp v144, v144 quad_perm:[0,0,0,0] row_mask:0xf bank_mask:0xf// 000000008630: 7F2002FA FF000090
	s_add_u32 s60, 0x80, s59                                   // 000000008638: 803C3BFF 00000080
	v_mfma_f32_16x16x16_bf16 v[152:155], v[60:61], a[42:43], v[152:155]// 000000008640: D3E10098 1662553C
	buffer_load_dword v11, s[24:27], 0 idxen lds               // 000000008648: E0512000 8006000B
	v_mfma_f32_16x16x16_bf16 v[152:155], v[62:63], a[46:47], v[152:155]// 000000008650: D3E10098 16625D3E
	s_cmp_lt_u32 s60, s58                                      // 000000008658: BF0A3A3C
	s_cselect_b32 s68, s68, 0                                  // 00000000865C: 85448044
	s_cselect_b32 s99, s99, 0                                  // 000000008660: 85638063
	s_cselect_b32 s69, s69, 0                                  // 000000008664: 85458045
	v_mfma_f32_16x16x16_bf16 v[152:155], v[64:65], a[50:51], v[152:155]// 000000008668: D3E10098 16626540
	v_add_u32_e32 v1, s68, v1                                  // 000000008670: 68020244
	v_add_u32_e32 v2, s68, v2                                  // 000000008674: 68040444
	;; [unrolled: 1-line block ×3, first 2 shown]
	v_add_u32_e32 v4, s68, v4                                  // 00000000867C: 68080844
	v_mfma_f32_16x16x16_bf16 v[152:155], v[66:67], a[54:55], v[152:155]// 000000008680: D3E10098 16626D42
	v_add_u32_e32 v232, s99, v232                              // 000000008688: 69D1D063
	v_add_u32_e32 v233, s99, v233                              // 00000000868C: 69D3D263
	v_add_u32_e32 v234, s99, v234                              // 000000008690: 69D5D463
	v_add_u32_e32 v235, s99, v235                              // 000000008694: 69D7D663
	v_mfma_f32_16x16x16_bf16 v[152:155], v[68:69], a[58:59], v[152:155]// 000000008698: D3E10098 16627544
	s_mov_b32 m0, s80                                          // 0000000086A0: BEFC0050
	v_add_u32_e32 v11, s69, v11                                // 0000000086A4: 68161645
	v_mfma_f32_16x16x16_bf16 v[152:155], v[70:71], a[62:63], v[152:155]// 0000000086A8: D3E10098 16627D46
	s_cmp_ge_u32 s59, s73                                      // 0000000086B0: BF09493B
	s_cselect_b32 s66, s67, s66                                // 0000000086B4: 85424243
	v_mfma_f32_16x16x16_bf16 v[152:155], v[72:73], a[66:67], v[152:155]// 0000000086B8: D3E10098 16628548
	s_addk_i32 s59, 0x20                                       // 0000000086C0: B73B0020
	s_nop 0                                                    // 0000000086C4: BF800000
	s_cmp_lt_i32 s59, s58                                      // 0000000086C8: BF043A3B
	v_mfma_f32_16x16x16_bf16 v[152:155], v[74:75], a[70:71], v[152:155]// 0000000086CC: D3E10098 16628D4A
	s_cbranch_scc0 label_0E01                                  // 0000000086D4: BF84FC39
	s_waitcnt lgkmcnt(0)                                       // 0000000086D8: BF8CC07F
	s_barrier                                                  // 0000000086DC: BF8A0000
	v_mfma_f32_16x16x16_bf16 v[52:55], a[96:97], a[0:1], 0     // 0000000086E0: D3E10034 1A020160
	v_mul_f32_e32 v148, s47, v148                              // 0000000086E8: 0B29282F
	v_mul_f32_e32 v149, s47, v149                              // 0000000086EC: 0B2B2A2F
	v_mfma_f32_16x16x16_bf16 v[52:55], a[98:99], a[2:3], v[52:55]// 0000000086F0: D3E10034 1CD20562
	ds_write_b32 v13, v44 offset:8704                          // 0000000086F8: D81A2200 00002C0D
	ds_write_b32 v13, v45 offset:9760                          // 000000008700: D81A2620 00002D0D
	v_mfma_f32_16x16x16_bf16 v[52:55], a[100:101], a[4:5], v[52:55]// 000000008708: D3E10034 1CD20964
	v_mul_f32_e32 v150, s47, v150                              // 000000008710: 0B2D2C2F
	v_mul_f32_e32 v151, s47, v151                              // 000000008714: 0B2F2E2F
	v_mfma_f32_16x16x16_bf16 v[52:55], a[102:103], a[6:7], v[52:55]// 000000008718: D3E10034 1CD20D66
	ds_write_b32 v13, v46 offset:10880                         // 000000008720: D81A2A80 00002E0D
	ds_write_b32 v13, v47 offset:11936                         // 000000008728: D81A2EA0 00002F0D
	v_mfma_f32_16x16x16_bf16 v[56:59], a[96:97], a[8:9], 0     // 000000008730: D3E10038 1A021160
	v_mul_f32_e32 v152, s47, v152                              // 000000008738: 0B31302F
	v_mul_f32_e32 v153, s47, v153                              // 00000000873C: 0B33322F
	v_mfma_f32_16x16x16_bf16 v[56:59], a[98:99], a[10:11], v[56:59]// 000000008740: D3E10038 1CE21562
	ds_write_b64 v22, v[148:149] offset:31232                  // 000000008748: D89A7A00 00009416
	v_mfma_f32_16x16x16_bf16 v[56:59], a[100:101], a[12:13], v[56:59]// 000000008750: D3E10038 1CE21964
	v_mul_f32_e32 v154, s47, v154                              // 000000008758: 0B35342F
	v_mul_f32_e32 v155, s47, v155                              // 00000000875C: 0B37362F
	v_mfma_f32_16x16x16_bf16 v[56:59], a[102:103], a[14:15], v[56:59]// 000000008760: D3E10038 1CE21D66
	ds_write_b64 v22, v[150:151] offset:31744                  // 000000008768: D89A7C00 00009616
	v_mfma_f32_16x16x16_bf16 v[60:63], a[96:97], a[16:17], 0   // 000000008770: D3E1003C 1A022160
	buffer_atomic_add_f32 v160, v8, s[32:35], 0 idxen          // 000000008778: E1342000 8008A008
	v_mfma_f32_16x16x16_bf16 v[60:63], a[98:99], a[18:19], v[60:63]// 000000008780: D3E1003C 1CF22562
	ds_write_b64 v22, v[152:153] offset:32256                  // 000000008788: D89A7E00 00009816
	v_mfma_f32_16x16x16_bf16 v[60:63], a[100:101], a[20:21], v[60:63]// 000000008790: D3E1003C 1CF22964
	v_mfma_f32_16x16x16_bf16 v[60:63], a[102:103], a[22:23], v[60:63]// 000000008798: D3E1003C 1CF22D66
	ds_write_b64 v22, v[154:155] offset:32768                  // 0000000087A0: D89A8000 00009A16
	v_mfma_f32_16x16x16_bf16 v[64:67], a[104:105], a[0:1], 0   // 0000000087A8: D3E10040 1A020168
	buffer_atomic_add_f32 v161, v9, s[32:35], 0 idxen          // 0000000087B0: E1342000 8008A109
	v_mfma_f32_16x16x16_bf16 v[64:67], a[106:107], a[2:3], v[64:67]// 0000000087B8: D3E10040 1D02056A
	ds_read_b128 v[124:127], v14 offset:13056                  // 0000000087C0: D9FE3300 7C00000E
	ds_write_b32 v13, v36                                      // 0000000087C8: D81A0000 0000240D
	v_mfma_f32_16x16x16_bf16 v[64:67], a[108:109], a[4:5], v[64:67]// 0000000087D0: D3E10040 1D02096C
	v_mfma_f32_16x16x16_bf16 v[64:67], a[110:111], a[6:7], v[64:67]// 0000000087D8: D3E10040 1D020D6E
	v_mfma_f32_16x16x16_bf16 v[68:71], a[104:105], a[8:9], 0   // 0000000087E0: D3E10044 1A021168
	ds_read_b128 v[128:131], v14 offset:13568                  // 0000000087E8: D9FE3500 8000000E
	ds_write_b32 v13, v37 offset:1056                          // 0000000087F0: D81A0420 0000250D
	v_mfma_f32_16x16x16_bf16 v[68:71], a[106:107], a[10:11], v[68:71]// 0000000087F8: D3E10044 1D12156A
	buffer_atomic_add_f32 v162, v8, s[32:35], 0 idxen offset:128// 000000008800: E1342080 8008A208
	v_mfma_f32_16x16x16_bf16 v[68:71], a[108:109], a[12:13], v[68:71]// 000000008808: D3E10044 1D12196C
	v_mfma_f32_16x16x16_bf16 v[68:71], a[110:111], a[14:15], v[68:71]// 000000008810: D3E10044 1D121D6E
	ds_read_b128 v[132:135], v14 offset:15232                  // 000000008818: D9FE3B80 8400000E
	ds_write_b32 v13, v38 offset:2176                          // 000000008820: D81A0880 0000260D
	v_mfma_f32_16x16x16_bf16 v[72:75], a[104:105], a[16:17], 0 // 000000008828: D3E10048 1A022168
	v_mfma_f32_16x16x16_bf16 v[72:75], a[106:107], a[18:19], v[72:75]// 000000008830: D3E10048 1D22256A
	buffer_atomic_add_f32 v163, v9, s[32:35], 0 idxen offset:128// 000000008838: E1342080 8008A309
	v_mfma_f32_16x16x16_bf16 v[72:75], a[108:109], a[20:21], v[72:75]// 000000008840: D3E10048 1D22296C
	ds_read_b128 v[136:139], v14 offset:15744                  // 000000008848: D9FE3D80 8800000E
	ds_write_b32 v13, v39 offset:3232                          // 000000008850: D81A0CA0 0000270D
	v_mfma_f32_16x16x16_bf16 v[72:75], a[110:111], a[22:23], v[72:75]// 000000008858: D3E10048 1D222D6E
	s_cmp_eq_i32 s94, 0                                        // 000000008860: BF00805E
	s_cbranch_scc1 label_132E                                  // 000000008864: BF8500F0
	s_cmp_lt_i32 s74, 6                                        // 000000008868: BF04864A
	s_cbranch_scc0 label_12B5                                  // 00000000886C: BF84007E
	s_lshl_b32 s60, s74, 5                                     // 000000008870: 8E3C854A
	s_lshl_b32 s61, 0, 4                                       // 000000008874: 8E3D8480
	s_add_i32 s60, s60, s61                                    // 000000008878: 813C3D3C
	v_sub_i32 v32, v236, s60                                   // 00000000887C: D29D0020 000079EC
	s_mov_b32 s61, 0                                           // 000000008884: BEBD0080
	v_add_i32 v33, v32, s61                                    // 000000008888: D29C0021 00007B20
	v_cmp_gt_i32_e64 s[90:91], v33, 0                          // 000000008890: D0C4005A 00010121
	v_cmp_gt_i32_e64 s[92:93], v33, 1                          // 000000008898: D0C4005C 00010321
	v_cndmask_b32_e64 v52, v52, v178, s[90:91]                 // 0000000088A0: D1000034 016B6534
	v_cndmask_b32_e64 v53, v53, v178, s[92:93]                 // 0000000088A8: D1000035 01736535
	v_cmp_gt_i32_e64 s[90:91], v33, 2                          // 0000000088B0: D0C4005A 00010521
	v_cmp_gt_i32_e64 s[92:93], v33, 3                          // 0000000088B8: D0C4005C 00010721
	v_cndmask_b32_e64 v54, v54, v178, s[90:91]                 // 0000000088C0: D1000036 016B6536
	v_cndmask_b32_e64 v55, v55, v178, s[92:93]                 // 0000000088C8: D1000037 01736537
	s_mov_b32 s61, 64                                          // 0000000088D0: BEBD00C0
	v_add_i32 v33, v32, s61                                    // 0000000088D4: D29C0021 00007B20
	v_cmp_gt_i32_e64 s[90:91], v33, 0                          // 0000000088DC: D0C4005A 00010121
	v_cmp_gt_i32_e64 s[92:93], v33, 1                          // 0000000088E4: D0C4005C 00010321
	v_cndmask_b32_e64 v56, v56, v178, s[90:91]                 // 0000000088EC: D1000038 016B6538
	v_cndmask_b32_e64 v57, v57, v178, s[92:93]                 // 0000000088F4: D1000039 01736539
	v_cmp_gt_i32_e64 s[90:91], v33, 2                          // 0000000088FC: D0C4005A 00010521
	v_cmp_gt_i32_e64 s[92:93], v33, 3                          // 000000008904: D0C4005C 00010721
	v_cndmask_b32_e64 v58, v58, v178, s[90:91]                 // 00000000890C: D100003A 016B653A
	v_cndmask_b32_e64 v59, v59, v178, s[92:93]                 // 000000008914: D100003B 0173653B
	s_mov_b32 s61, 0x80                                        // 00000000891C: BEBD00FF 00000080
	v_add_i32 v33, v32, s61                                    // 000000008924: D29C0021 00007B20
	v_cmp_gt_i32_e64 s[90:91], v33, 0                          // 00000000892C: D0C4005A 00010121
	v_cmp_gt_i32_e64 s[92:93], v33, 1                          // 000000008934: D0C4005C 00010321
	v_cndmask_b32_e64 v60, v60, v178, s[90:91]                 // 00000000893C: D100003C 016B653C
	v_cndmask_b32_e64 v61, v61, v178, s[92:93]                 // 000000008944: D100003D 0173653D
	v_cmp_gt_i32_e64 s[90:91], v33, 2                          // 00000000894C: D0C4005A 00010521
	v_cmp_gt_i32_e64 s[92:93], v33, 3                          // 000000008954: D0C4005C 00010721
	v_cndmask_b32_e64 v62, v62, v178, s[90:91]                 // 00000000895C: D100003E 016B653E
	v_cndmask_b32_e64 v63, v63, v178, s[92:93]                 // 000000008964: D100003F 0173653F
	s_lshl_b32 s60, s74, 5                                     // 00000000896C: 8E3C854A
	s_lshl_b32 s61, 1, 4                                       // 000000008970: 8E3D8481
	s_add_i32 s60, s60, s61                                    // 000000008974: 813C3D3C
	v_sub_i32 v32, v236, s60                                   // 000000008978: D29D0020 000079EC
	s_mov_b32 s61, 0                                           // 000000008980: BEBD0080
	v_add_i32 v33, v32, s61                                    // 000000008984: D29C0021 00007B20
	v_cmp_gt_i32_e64 s[90:91], v33, 0                          // 00000000898C: D0C4005A 00010121
	v_cmp_gt_i32_e64 s[92:93], v33, 1                          // 000000008994: D0C4005C 00010321
	v_cndmask_b32_e64 v64, v64, v178, s[90:91]                 // 00000000899C: D1000040 016B6540
	v_cndmask_b32_e64 v65, v65, v178, s[92:93]                 // 0000000089A4: D1000041 01736541
	v_cmp_gt_i32_e64 s[90:91], v33, 2                          // 0000000089AC: D0C4005A 00010521
	v_cmp_gt_i32_e64 s[92:93], v33, 3                          // 0000000089B4: D0C4005C 00010721
	v_cndmask_b32_e64 v66, v66, v178, s[90:91]                 // 0000000089BC: D1000042 016B6542
	v_cndmask_b32_e64 v67, v67, v178, s[92:93]                 // 0000000089C4: D1000043 01736543
	s_mov_b32 s61, 64                                          // 0000000089CC: BEBD00C0
	v_add_i32 v33, v32, s61                                    // 0000000089D0: D29C0021 00007B20
	v_cmp_gt_i32_e64 s[90:91], v33, 0                          // 0000000089D8: D0C4005A 00010121
	v_cmp_gt_i32_e64 s[92:93], v33, 1                          // 0000000089E0: D0C4005C 00010321
	v_cndmask_b32_e64 v68, v68, v178, s[90:91]                 // 0000000089E8: D1000044 016B6544
	v_cndmask_b32_e64 v69, v69, v178, s[92:93]                 // 0000000089F0: D1000045 01736545
	v_cmp_gt_i32_e64 s[90:91], v33, 2                          // 0000000089F8: D0C4005A 00010521
	v_cmp_gt_i32_e64 s[92:93], v33, 3                          // 000000008A00: D0C4005C 00010721
	v_cndmask_b32_e64 v70, v70, v178, s[90:91]                 // 000000008A08: D1000046 016B6546
	v_cndmask_b32_e64 v71, v71, v178, s[92:93]                 // 000000008A10: D1000047 01736547
	s_mov_b32 s61, 0x80                                        // 000000008A18: BEBD00FF 00000080
	v_add_i32 v33, v32, s61                                    // 000000008A20: D29C0021 00007B20
	v_cmp_gt_i32_e64 s[90:91], v33, 0                          // 000000008A28: D0C4005A 00010121
	v_cmp_gt_i32_e64 s[92:93], v33, 1                          // 000000008A30: D0C4005C 00010321
	v_cndmask_b32_e64 v72, v72, v178, s[90:91]                 // 000000008A38: D1000048 016B6548
	v_cndmask_b32_e64 v73, v73, v178, s[92:93]                 // 000000008A40: D1000049 01736549
	v_cmp_gt_i32_e64 s[90:91], v33, 2                          // 000000008A48: D0C4005A 00010521
	v_cmp_gt_i32_e64 s[92:93], v33, 3                          // 000000008A50: D0C4005C 00010721
	v_cndmask_b32_e64 v74, v74, v178, s[90:91]                 // 000000008A58: D100004A 016B654A
	v_cndmask_b32_e64 v75, v75, v178, s[92:93]                 // 000000008A60: D100004B 0173654B

0000000000008a68 <label_12B5>:
	s_cmp_lt_i32 s101, 0xc0                                    // 000000008A68: BF04FF65 000000C0
	s_cbranch_scc0 label_132E                                  // 000000008A70: BF84006D
	s_cmp_le_i32 s101, 64                                      // 000000008A74: BF05C065
	s_cbranch_scc1 label_12C1                                  // 000000008A78: BF850007
	s_cmp_le_i32 s101, 0x80                                    // 000000008A7C: BF05FF65 00000080
	s_cbranch_scc1 label_12E5                                  // 000000008A84: BF85001F
	s_cmp_lt_i32 s101, 0xc0                                    // 000000008A88: BF04FF65 000000C0
	s_cbranch_scc1 label_1309                                  // 000000008A90: BF850040
	s_branch label_132E                                        // 000000008A94: BF820064

0000000000008a98 <label_12C1>:
	s_mov_b32 s60, 0                                           // 000000008A98: BEBC0080
	v_and_b32_e32 v32, 15, v0                                  // 000000008A9C: 2640008F
	v_add_u32_e64 v32, v32, s60                                // 000000008AA0: D1340020 00007920
	v_mul_i32_i24_e64 v33, s46, 16                             // 000000008AA8: D1060021 0001202E
	v_add_u32_e32 v32, v32, v33                                // 000000008AB0: 68404320
	v_cmp_lt_u32_e64 s[60:61], v32, s101                       // 000000008AB4: D0C9003C 0000CB20
	s_nop 1                                                    // 000000008ABC: BF800001
	v_cndmask_b32_e64 v52, v178, v52, s[60:61]                 // 000000008AC0: D1000034 00F269B2
	v_cndmask_b32_e64 v64, v178, v64, s[60:61]                 // 000000008AC8: D1000040 00F281B2
	v_cndmask_b32_e64 v53, v178, v53, s[60:61]                 // 000000008AD0: D1000035 00F26BB2
	v_cndmask_b32_e64 v65, v178, v65, s[60:61]                 // 000000008AD8: D1000041 00F283B2
	v_cndmask_b32_e64 v54, v178, v54, s[60:61]                 // 000000008AE0: D1000036 00F26DB2
	v_cndmask_b32_e64 v66, v178, v66, s[60:61]                 // 000000008AE8: D1000042 00F285B2
	v_cndmask_b32_e64 v55, v178, v55, s[60:61]                 // 000000008AF0: D1000037 00F26FB2
	v_cndmask_b32_e64 v67, v178, v67, s[60:61]                 // 000000008AF8: D1000043 00F287B2
	s_branch label_1300                                        // 000000008B00: BF82001B

0000000000008b04 <label_12E5>:
	s_mov_b32 s60, 64                                          // 000000008B04: BEBC00C0
	v_and_b32_e32 v32, 15, v0                                  // 000000008B08: 2640008F
	v_add_u32_e64 v32, v32, s60                                // 000000008B0C: D1340020 00007920
	v_mul_i32_i24_e64 v33, s46, 16                             // 000000008B14: D1060021 0001202E
	v_add_u32_e32 v32, v32, v33                                // 000000008B1C: 68404320
	v_cmp_lt_u32_e64 s[60:61], v32, s101                       // 000000008B20: D0C9003C 0000CB20
	s_nop 1                                                    // 000000008B28: BF800001
	v_cndmask_b32_e64 v56, v178, v56, s[60:61]                 // 000000008B2C: D1000038 00F271B2
	v_cndmask_b32_e64 v68, v178, v68, s[60:61]                 // 000000008B34: D1000044 00F289B2
	v_cndmask_b32_e64 v57, v178, v57, s[60:61]                 // 000000008B3C: D1000039 00F273B2
	v_cndmask_b32_e64 v69, v178, v69, s[60:61]                 // 000000008B44: D1000045 00F28BB2
	v_cndmask_b32_e64 v58, v178, v58, s[60:61]                 // 000000008B4C: D100003A 00F275B2
	v_cndmask_b32_e64 v70, v178, v70, s[60:61]                 // 000000008B54: D1000046 00F28DB2
	v_cndmask_b32_e64 v59, v178, v59, s[60:61]                 // 000000008B5C: D100003B 00F277B2
	v_cndmask_b32_e64 v71, v178, v71, s[60:61]                 // 000000008B64: D1000047 00F28FB2
	s_branch label_1325                                        // 000000008B6C: BF820025

0000000000008b70 <label_1300>:
	v_mov_b32_e32 v56, v178                                    // 000000008B70: 7E7003B2
	v_mov_b32_e32 v68, v178                                    // 000000008B74: 7E8803B2
	v_mov_b32_e32 v57, v178                                    // 000000008B78: 7E7203B2
	v_mov_b32_e32 v69, v178                                    // 000000008B7C: 7E8A03B2
	v_mov_b32_e32 v58, v178                                    // 000000008B80: 7E7403B2
	v_mov_b32_e32 v70, v178                                    // 000000008B84: 7E8C03B2
	v_mov_b32_e32 v59, v178                                    // 000000008B88: 7E7603B2
	v_mov_b32_e32 v71, v178                                    // 000000008B8C: 7E8E03B2
	s_branch label_1325                                        // 000000008B90: BF82001C

0000000000008b94 <label_1309>:
	s_mov_b32 s60, 0x80                                        // 000000008B94: BEBC00FF 00000080
	v_and_b32_e32 v32, 15, v0                                  // 000000008B9C: 2640008F
	v_add_u32_e64 v32, v32, s60                                // 000000008BA0: D1340020 00007920
	v_mul_i32_i24_e64 v33, s46, 16                             // 000000008BA8: D1060021 0001202E
	v_add_u32_e32 v32, v32, v33                                // 000000008BB0: 68404320
	v_cmp_lt_u32_e64 s[60:61], v32, s101                       // 000000008BB4: D0C9003C 0000CB20
	s_nop 1                                                    // 000000008BBC: BF800001
	v_cndmask_b32_e64 v60, v178, v60, s[60:61]                 // 000000008BC0: D100003C 00F279B2
	v_cndmask_b32_e64 v72, v178, v72, s[60:61]                 // 000000008BC8: D1000048 00F291B2
	v_cndmask_b32_e64 v61, v178, v61, s[60:61]                 // 000000008BD0: D100003D 00F27BB2
	v_cndmask_b32_e64 v73, v178, v73, s[60:61]                 // 000000008BD8: D1000049 00F293B2
	v_cndmask_b32_e64 v62, v178, v62, s[60:61]                 // 000000008BE0: D100003E 00F27DB2
	v_cndmask_b32_e64 v74, v178, v74, s[60:61]                 // 000000008BE8: D100004A 00F295B2
	v_cndmask_b32_e64 v63, v178, v63, s[60:61]                 // 000000008BF0: D100003F 00F27FB2
	v_cndmask_b32_e64 v75, v178, v75, s[60:61]                 // 000000008BF8: D100004B 00F297B2
	s_branch label_132E                                        // 000000008C00: BF820009

0000000000008c04 <label_1325>:
	v_mov_b32_e32 v60, v178                                    // 000000008C04: 7E7803B2
	v_mov_b32_e32 v72, v178                                    // 000000008C08: 7E9003B2
	v_mov_b32_e32 v61, v178                                    // 000000008C0C: 7E7A03B2
	v_mov_b32_e32 v73, v178                                    // 000000008C10: 7E9203B2
	v_mov_b32_e32 v62, v178                                    // 000000008C14: 7E7C03B2
	v_mov_b32_e32 v74, v178                                    // 000000008C18: 7E9403B2
	v_mov_b32_e32 v63, v178                                    // 000000008C1C: 7E7E03B2
	v_mov_b32_e32 v75, v178                                    // 000000008C20: 7E9603B2
	s_branch label_132E                                        // 000000008C24: BF820000

0000000000008c28 <label_132E>:
	s_addk_i32 s74, 0x1                                        // 000000008C28: B74A0001
	s_waitcnt lgkmcnt(8)                                       // 000000008C2C: BF8CC87F
	s_barrier                                                  // 000000008C30: BF8A0000
	v_mfma_f32_16x16x16_bf16 v[76:79], v[108:109], a[72:73], 0 // 000000008C34: D3E1004C 1202916C
	v_fma_f32 v52, v52, s57, -v140                             // 000000008C3C: D1CB0034 86307334
	v_fma_f32 v53, v53, s57, -v141                             // 000000008C44: D1CB0035 86347335
	v_fma_f32 v54, v54, s57, -v142                             // 000000008C4C: D1CB0036 86387336
	v_fma_f32 v55, v55, s57, -v143                             // 000000008C54: D1CB0037 863C7337
	v_fma_f32 v56, v56, s57, -v140                             // 000000008C5C: D1CB0038 86307338
	v_fma_f32 v57, v57, s57, -v141                             // 000000008C64: D1CB0039 86347339
	v_mfma_f32_16x16x16_bf16 v[76:79], v[110:111], a[74:75], v[76:79]// 000000008C6C: D3E1004C 1532956E
	ds_read_b128 a[96:99], v14 offset:4352                     // 000000008C74: DBFE1100 6000000E
	ds_read_b128 a[100:103], v14 offset:4864                   // 000000008C7C: DBFE1300 6400000E
	v_mfma_f32_16x16x16_bf16 v[76:79], v[112:113], a[76:77], v[76:79]// 000000008C84: D3E1004C 15329970
	v_fma_f32 v58, v58, s57, -v142                             // 000000008C8C: D1CB003A 8638733A
	v_fma_f32 v59, v59, s57, -v143                             // 000000008C94: D1CB003B 863C733B
	v_fma_f32 v60, v60, s57, -v140                             // 000000008C9C: D1CB003C 8630733C
	v_fma_f32 v61, v61, s57, -v141                             // 000000008CA4: D1CB003D 8634733D
	v_fma_f32 v62, v62, s57, -v142                             // 000000008CAC: D1CB003E 8638733E
	v_fma_f32 v63, v63, s57, -v143                             // 000000008CB4: D1CB003F 863C733F
	v_mfma_f32_16x16x16_bf16 v[76:79], v[114:115], a[78:79], v[76:79]// 000000008CBC: D3E1004C 15329D72
	v_fma_f32 v64, v64, s57, -v144                             // 000000008CC4: D1CB0040 86407340
	v_fma_f32 v65, v65, s57, -v145                             // 000000008CCC: D1CB0041 86447341
	v_fma_f32 v66, v66, s57, -v146                             // 000000008CD4: D1CB0042 86487342
	v_fma_f32 v67, v67, s57, -v147                             // 000000008CDC: D1CB0043 864C7343
	v_fma_f32 v68, v68, s57, -v144                             // 000000008CE4: D1CB0044 86407344
	v_fma_f32 v69, v69, s57, -v145                             // 000000008CEC: D1CB0045 86447345
	v_mfma_f32_16x16x16_bf16 v[80:83], v[108:109], a[80:81], 0 // 000000008CF4: D3E10050 1202A16C
	v_fma_f32 v70, v70, s57, -v146                             // 000000008CFC: D1CB0046 86487346
	v_fma_f32 v71, v71, s57, -v147                             // 000000008D04: D1CB0047 864C7347
	v_fma_f32 v72, v72, s57, -v144                             // 000000008D0C: D1CB0048 86407348
	v_fma_f32 v73, v73, s57, -v145                             // 000000008D14: D1CB0049 86447349
	v_fma_f32 v74, v74, s57, -v146                             // 000000008D1C: D1CB004A 8648734A
	v_fma_f32 v75, v75, s57, -v147                             // 000000008D24: D1CB004B 864C734B
	v_mfma_f32_16x16x16_bf16 v[80:83], v[110:111], a[82:83], v[80:83]// 000000008D2C: D3E10050 1542A56E
	ds_read_b128 a[104:107], v14 offset:6528                   // 000000008D34: DBFE1980 6800000E
	ds_read_b128 a[108:111], v14 offset:7040                   // 000000008D3C: DBFE1B80 6C00000E
	v_mfma_f32_16x16x16_bf16 v[80:83], v[112:113], a[84:85], v[80:83]// 000000008D44: D3E10050 1542A970
	v_exp_f32_e32 v52, v52                                     // 000000008D4C: 7E684134
	v_exp_f32_e32 v53, v53                                     // 000000008D50: 7E6A4135
	v_mfma_f32_16x16x16_bf16 v[80:83], v[114:115], a[86:87], v[80:83]// 000000008D54: D3E10050 1542AD72
	v_exp_f32_e32 v54, v54                                     // 000000008D5C: 7E6C4136
	v_exp_f32_e32 v55, v55                                     // 000000008D60: 7E6E4137
	v_mfma_f32_16x16x16_bf16 v[84:87], v[108:109], a[88:89], 0 // 000000008D64: D3E10054 1202B16C
	v_exp_f32_e32 v56, v56                                     // 000000008D6C: 7E704138
	v_exp_f32_e32 v57, v57                                     // 000000008D70: 7E724139
	v_mfma_f32_16x16x16_bf16 v[84:87], v[110:111], a[90:91], v[84:87]// 000000008D74: D3E10054 1552B56E
	ds_read_b64 v[156:157], v21 offset:31232                   // 000000008D7C: D8EC7A00 9C000015
	ds_read_b64 v[158:159], v21 offset:33280                   // 000000008D84: D8EC8200 9E000015
	v_mfma_f32_16x16x16_bf16 v[84:87], v[112:113], a[92:93], v[84:87]// 000000008D8C: D3E10054 1552B970
	v_exp_f32_e32 v58, v58                                     // 000000008D94: 7E74413A
	v_exp_f32_e32 v59, v59                                     // 000000008D98: 7E76413B
	v_mfma_f32_16x16x16_bf16 v[84:87], v[114:115], a[94:95], v[84:87]// 000000008D9C: D3E10054 1552BD72
	ds_read_b64 v[160:161], v21 offset:35328                   // 000000008DA4: D8EC8A00 A0000015
	ds_read_b64 v[162:163], v21 offset:37376                   // 000000008DAC: D8EC9200 A2000015
	v_mfma_f32_16x16x16_bf16 v[88:91], v[116:117], a[72:73], 0 // 000000008DB4: D3E10058 12029174
	v_exp_f32_e32 v60, v60                                     // 000000008DBC: 7E78413C
	v_exp_f32_e32 v61, v61                                     // 000000008DC0: 7E7A413D
	v_mfma_f32_16x16x16_bf16 v[88:91], v[118:119], a[74:75], v[88:91]// 000000008DC4: D3E10058 15629576
	v_exp_f32_e32 v62, v62                                     // 000000008DCC: 7E7C413E
	v_exp_f32_e32 v63, v63                                     // 000000008DD0: 7E7E413F
	v_mfma_f32_16x16x16_bf16 v[88:91], v[120:121], a[76:77], v[88:91]// 000000008DD4: D3E10058 15629978
	v_exp_f32_e32 v64, v64                                     // 000000008DDC: 7E804140
	v_exp_f32_e32 v65, v65                                     // 000000008DE0: 7E824141
	v_mfma_f32_16x16x16_bf16 v[88:91], v[122:123], a[78:79], v[88:91]// 000000008DE4: D3E10058 15629D7A
	v_exp_f32_e32 v66, v66                                     // 000000008DEC: 7E844142
	v_exp_f32_e32 v67, v67                                     // 000000008DF0: 7E864143
	v_mfma_f32_16x16x16_bf16 v[92:95], v[116:117], a[80:81], 0 // 000000008DF4: D3E1005C 1202A174
	v_exp_f32_e32 v68, v68                                     // 000000008DFC: 7E884144
	v_exp_f32_e32 v69, v69                                     // 000000008E00: 7E8A4145
	v_mfma_f32_16x16x16_bf16 v[92:95], v[118:119], a[82:83], v[92:95]// 000000008E04: D3E1005C 1572A576
	v_exp_f32_e32 v70, v70                                     // 000000008E0C: 7E8C4146
	v_exp_f32_e32 v71, v71                                     // 000000008E10: 7E8E4147
	v_mfma_f32_16x16x16_bf16 v[92:95], v[120:121], a[84:85], v[92:95]// 000000008E14: D3E1005C 1572A978
	v_exp_f32_e32 v72, v72                                     // 000000008E1C: 7E904148
	v_exp_f32_e32 v73, v73                                     // 000000008E20: 7E924149
	v_mfma_f32_16x16x16_bf16 v[92:95], v[122:123], a[86:87], v[92:95]// 000000008E24: D3E1005C 1572AD7A
	v_exp_f32_e32 v74, v74                                     // 000000008E2C: 7E94414A
	v_exp_f32_e32 v75, v75                                     // 000000008E30: 7E96414B
	v_mfma_f32_16x16x16_bf16 v[96:99], v[116:117], a[88:89], 0 // 000000008E34: D3E10060 1202B174
	v_perm_b32 v164, v53, v52, s64                             // 000000008E3C: D1ED00A4 01026935
	v_perm_b32 v165, v55, v54, s64                             // 000000008E44: D1ED00A5 01026D37
	v_perm_b32 v166, v57, v56, s64                             // 000000008E4C: D1ED00A6 01027139
	v_perm_b32 v167, v59, v58, s64                             // 000000008E54: D1ED00A7 0102753B
	v_perm_b32 v168, v61, v60, s64                             // 000000008E5C: D1ED00A8 0102793D
	v_perm_b32 v169, v63, v62, s64                             // 000000008E64: D1ED00A9 01027D3F
	v_mfma_f32_16x16x16_bf16 v[96:99], v[118:119], a[90:91], v[96:99]// 000000008E6C: D3E10060 1582B576
	v_perm_b32 v170, v65, v64, s64                             // 000000008E74: D1ED00AA 01028141
	v_perm_b32 v171, v67, v66, s64                             // 000000008E7C: D1ED00AB 01028543
	v_perm_b32 v172, v69, v68, s64                             // 000000008E84: D1ED00AC 01028945
	v_perm_b32 v173, v71, v70, s64                             // 000000008E8C: D1ED00AD 01028D47
	v_perm_b32 v174, v73, v72, s64                             // 000000008E94: D1ED00AE 01029149
	v_perm_b32 v175, v75, v74, s64                             // 000000008E9C: D1ED00AF 0102954B
	v_mfma_f32_16x16x16_bf16 v[96:99], v[120:121], a[92:93], v[96:99]// 000000008EA4: D3E10060 1582B978
	v_add_u32_e32 v6, s66, v6                                  // 000000008EAC: 680C0C42
	v_add_u32_e32 v7, s66, v7                                  // 000000008EB0: 680E0E42
	v_add_u32_e32 v8, s66, v8                                  // 000000008EB4: 68101042
	v_add_u32_e32 v9, s66, v9                                  // 000000008EB8: 68121242
	v_mfma_f32_16x16x16_bf16 v[96:99], v[122:123], a[94:95], v[96:99]// 000000008EBC: D3E10060 1582BD7A
	s_waitcnt lgkmcnt(0)                                       // 000000008EC4: BF8CC07F
	s_barrier                                                  // 000000008EC8: BF8A0000
	v_mfma_f32_16x16x16_bf16 v[180:183], v[124:125], v[164:165], v[180:183]// 000000008ECC: D3E100B4 06D3497C
	v_subrev_f32_dpp v76, v176, v76 quad_perm:[0,0,0,0] row_mask:0xf bank_mask:0xf// 000000008ED4: 069898FA FF0000B0
	v_subrev_f32_dpp v77, v176, v77 quad_perm:[1,1,1,1] row_mask:0xf bank_mask:0xf// 000000008EDC: 069A9AFA FF0055B0
	v_subrev_f32_dpp v78, v176, v78 quad_perm:[2,2,2,2] row_mask:0xf bank_mask:0xf// 000000008EE4: 069C9CFA FF00AAB0
	v_subrev_f32_dpp v79, v176, v79 quad_perm:[3,3,3,3] row_mask:0xf bank_mask:0xf// 000000008EEC: 069E9EFA FF00FFB0
	v_subrev_f32_dpp v80, v176, v80 quad_perm:[0,0,0,0] row_mask:0xf bank_mask:0xf// 000000008EF4: 06A0A0FA FF0000B0
	v_subrev_f32_dpp v81, v176, v81 quad_perm:[1,1,1,1] row_mask:0xf bank_mask:0xf// 000000008EFC: 06A2A2FA FF0055B0
	v_mfma_f32_16x16x16_bf16 v[184:187], v[126:127], v[164:165], v[184:187]// 000000008F04: D3E100B8 06E3497E
	v_subrev_f32_dpp v82, v176, v82 quad_perm:[2,2,2,2] row_mask:0xf bank_mask:0xf// 000000008F0C: 06A4A4FA FF00AAB0
	v_subrev_f32_dpp v83, v176, v83 quad_perm:[3,3,3,3] row_mask:0xf bank_mask:0xf// 000000008F14: 06A6A6FA FF00FFB0
	v_subrev_f32_dpp v84, v176, v84 quad_perm:[0,0,0,0] row_mask:0xf bank_mask:0xf// 000000008F1C: 06A8A8FA FF0000B0
	v_subrev_f32_dpp v85, v176, v85 quad_perm:[1,1,1,1] row_mask:0xf bank_mask:0xf// 000000008F24: 06AAAAFA FF0055B0
	v_subrev_f32_dpp v86, v176, v86 quad_perm:[2,2,2,2] row_mask:0xf bank_mask:0xf// 000000008F2C: 06ACACFA FF00AAB0
	v_subrev_f32_dpp v87, v176, v87 quad_perm:[3,3,3,3] row_mask:0xf bank_mask:0xf// 000000008F34: 06AEAEFA FF00FFB0
	v_mfma_f32_16x16x16_bf16 v[188:191], v[128:129], v[164:165], v[188:191]// 000000008F3C: D3E100BC 06F34980
	v_mul_f32_e32 v76, v52, v76                                // 000000008F44: 0A989934
	v_mul_f32_e32 v77, v53, v77                                // 000000008F48: 0A9A9B35
	v_mul_f32_e32 v78, v54, v78                                // 000000008F4C: 0A9C9D36
	v_mul_f32_e32 v79, v55, v79                                // 000000008F50: 0A9E9F37
	v_mul_f32_e32 v80, v56, v80                                // 000000008F54: 0AA0A138
	v_mul_f32_e32 v81, v57, v81                                // 000000008F58: 0AA2A339
	v_mfma_f32_16x16x16_bf16 v[192:195], v[130:131], v[164:165], v[192:195]// 000000008F5C: D3E100C0 07034982
	v_mul_f32_e32 v82, v58, v82                                // 000000008F64: 0AA4A53A
	v_mul_f32_e32 v83, v59, v83                                // 000000008F68: 0AA6A73B
	v_mul_f32_e32 v84, v60, v84                                // 000000008F6C: 0AA8A93C
	v_mul_f32_e32 v85, v61, v85                                // 000000008F70: 0AAAAB3D
	v_mul_f32_e32 v86, v62, v86                                // 000000008F74: 0AACAD3E
	v_mul_f32_e32 v87, v63, v87                                // 000000008F78: 0AAEAF3F
	v_mfma_f32_16x16x16_bf16 v[196:199], v[124:125], v[166:167], v[196:199]// 000000008F7C: D3E100C4 07134D7C
	v_perm_b32 v76, v77, v76, s64                              // 000000008F84: D1ED004C 0102994D
	v_perm_b32 v77, v79, v78, s64                              // 000000008F8C: D1ED004D 01029D4F
	v_perm_b32 v78, v81, v80, s64                              // 000000008F94: D1ED004E 0102A151
	v_perm_b32 v79, v83, v82, s64                              // 000000008F9C: D1ED004F 0102A553
	v_perm_b32 v80, v85, v84, s64                              // 000000008FA4: D1ED0050 0102A955
	v_perm_b32 v81, v87, v86, s64                              // 000000008FAC: D1ED0051 0102AD57
	v_mfma_f32_16x16x16_bf16 v[200:203], v[126:127], v[166:167], v[200:203]// 000000008FB4: D3E100C8 07234D7E
	v_mov_b32_dpp v18, v76 quad_perm:[1,0,3,2] row_mask:0xf bank_mask:0xf// 000000008FBC: 7E2402FA FF00B14C
	v_perm_b32 v52, v18, v76, v17                              // 000000008FC4: D1ED0034 04469912
	v_mov_b32_dpp v18, v77 quad_perm:[1,0,3,2] row_mask:0xf bank_mask:0xf// 000000008FCC: 7E2402FA FF00B14D
	v_perm_b32 v53, v18, v77, v17                              // 000000008FD4: D1ED0035 04469B12
	v_mov_b32_dpp v18, v78 quad_perm:[1,0,3,2] row_mask:0xf bank_mask:0xf// 000000008FDC: 7E2402FA FF00B14E
	v_perm_b32 v54, v18, v78, v17                              // 000000008FE4: D1ED0036 04469D12
	v_mfma_f32_16x16x16_bf16 v[204:207], v[128:129], v[166:167], v[204:207]// 000000008FEC: D3E100CC 07334D80
	ds_write_b32 v20, v52 offset:17408                         // 000000008FF4: D81A4400 00003414
	ds_write_b32 v20, v53 offset:17952                         // 000000008FFC: D81A4620 00003514
	v_mfma_f32_16x16x16_bf16 v[208:211], v[130:131], v[166:167], v[208:211]// 000000009004: D3E100D0 07434D82
	v_mov_b32_dpp v18, v79 quad_perm:[1,0,3,2] row_mask:0xf bank_mask:0xf// 00000000900C: 7E2402FA FF00B14F
	v_perm_b32 v55, v18, v79, v17                              // 000000009014: D1ED0037 04469F12
	v_mov_b32_dpp v18, v80 quad_perm:[1,0,3,2] row_mask:0xf bank_mask:0xf// 00000000901C: 7E2402FA FF00B150
	v_perm_b32 v56, v18, v80, v17                              // 000000009024: D1ED0038 0446A112
	v_mov_b32_dpp v18, v81 quad_perm:[1,0,3,2] row_mask:0xf bank_mask:0xf// 00000000902C: 7E2402FA FF00B151
	v_perm_b32 v57, v18, v81, v17                              // 000000009034: D1ED0039 0446A312
	v_mfma_f32_16x16x16_bf16 v[212:215], v[124:125], v[168:169], v[212:215]// 00000000903C: D3E100D4 0753517C
	ds_write_b32 v20, v54 offset:19712                         // 000000009044: D81A4D00 00003614
	ds_write_b32 v20, v55 offset:20256                         // 00000000904C: D81A4F20 00003714
	v_mfma_f32_16x16x16_bf16 v[216:219], v[126:127], v[168:169], v[216:219]// 000000009054: D3E100D8 0763517E
	v_subrev_f32_dpp v88, v177, v88 quad_perm:[0,0,0,0] row_mask:0xf bank_mask:0xf// 00000000905C: 06B0B0FA FF0000B1
	v_subrev_f32_dpp v89, v177, v89 quad_perm:[1,1,1,1] row_mask:0xf bank_mask:0xf// 000000009064: 06B2B2FA FF0055B1
	v_subrev_f32_dpp v90, v177, v90 quad_perm:[2,2,2,2] row_mask:0xf bank_mask:0xf// 00000000906C: 06B4B4FA FF00AAB1
	v_subrev_f32_dpp v91, v177, v91 quad_perm:[3,3,3,3] row_mask:0xf bank_mask:0xf// 000000009074: 06B6B6FA FF00FFB1
	v_subrev_f32_dpp v92, v177, v92 quad_perm:[0,0,0,0] row_mask:0xf bank_mask:0xf// 00000000907C: 06B8B8FA FF0000B1
	v_subrev_f32_dpp v93, v177, v93 quad_perm:[1,1,1,1] row_mask:0xf bank_mask:0xf// 000000009084: 06BABAFA FF0055B1
	v_mfma_f32_16x16x16_bf16 v[220:223], v[128:129], v[168:169], v[220:223]// 00000000908C: D3E100DC 07735180
	ds_write_b32 v20, v56 offset:22016                         // 000000009094: D81A5600 00003814
	ds_write_b32 v20, v57 offset:22560                         // 00000000909C: D81A5820 00003914
	v_mfma_f32_16x16x16_bf16 v[224:227], v[130:131], v[168:169], v[224:227]// 0000000090A4: D3E100E0 07835182
	v_subrev_f32_dpp v94, v177, v94 quad_perm:[2,2,2,2] row_mask:0xf bank_mask:0xf// 0000000090AC: 06BCBCFA FF00AAB1
	v_subrev_f32_dpp v95, v177, v95 quad_perm:[3,3,3,3] row_mask:0xf bank_mask:0xf// 0000000090B4: 06BEBEFA FF00FFB1
	v_subrev_f32_dpp v96, v177, v96 quad_perm:[0,0,0,0] row_mask:0xf bank_mask:0xf// 0000000090BC: 06C0C0FA FF0000B1
	v_subrev_f32_dpp v97, v177, v97 quad_perm:[1,1,1,1] row_mask:0xf bank_mask:0xf// 0000000090C4: 06C2C2FA FF0055B1
	v_subrev_f32_dpp v98, v177, v98 quad_perm:[2,2,2,2] row_mask:0xf bank_mask:0xf// 0000000090CC: 06C4C4FA FF00AAB1
	v_subrev_f32_dpp v99, v177, v99 quad_perm:[3,3,3,3] row_mask:0xf bank_mask:0xf// 0000000090D4: 06C6C6FA FF00FFB1
	v_mfma_f32_16x16x16_bf16 v[180:183], v[132:133], v[170:171], v[180:183]// 0000000090DC: D3E100B4 06D35584
	v_mul_f32_e32 v88, v64, v88                                // 0000000090E4: 0AB0B140
	v_mul_f32_e32 v89, v65, v89                                // 0000000090E8: 0AB2B341
	v_mul_f32_e32 v90, v66, v90                                // 0000000090EC: 0AB4B542
	v_mul_f32_e32 v91, v67, v91                                // 0000000090F0: 0AB6B743
	v_mul_f32_e32 v92, v68, v92                                // 0000000090F4: 0AB8B944
	v_mul_f32_e32 v93, v69, v93                                // 0000000090F8: 0ABABB45
	v_mfma_f32_16x16x16_bf16 v[184:187], v[134:135], v[170:171], v[184:187]// 0000000090FC: D3E100B8 06E35586
	v_mul_f32_e32 v94, v70, v94                                // 000000009104: 0ABCBD46
	v_mul_f32_e32 v95, v71, v95                                // 000000009108: 0ABEBF47
	v_mul_f32_e32 v96, v72, v96                                // 00000000910C: 0AC0C148
	v_mul_f32_e32 v97, v73, v97                                // 000000009110: 0AC2C349
	v_mul_f32_e32 v98, v74, v98                                // 000000009114: 0AC4C54A
	v_mul_f32_e32 v99, v75, v99                                // 000000009118: 0AC6C74B
	v_mfma_f32_16x16x16_bf16 v[188:191], v[136:137], v[170:171], v[188:191]// 00000000911C: D3E100BC 06F35588
	v_perm_b32 v82, v89, v88, s64                              // 000000009124: D1ED0052 0102B159
	v_perm_b32 v83, v91, v90, s64                              // 00000000912C: D1ED0053 0102B55B
	v_perm_b32 v84, v93, v92, s64                              // 000000009134: D1ED0054 0102B95D
	v_perm_b32 v85, v95, v94, s64                              // 00000000913C: D1ED0055 0102BD5F
	v_perm_b32 v86, v97, v96, s64                              // 000000009144: D1ED0056 0102C161
	v_perm_b32 v87, v99, v98, s64                              // 00000000914C: D1ED0057 0102C563
	v_mfma_f32_16x16x16_bf16 v[192:195], v[138:139], v[170:171], v[192:195]// 000000009154: D3E100C0 0703558A
	v_mov_b32_dpp v18, v82 quad_perm:[1,0,3,2] row_mask:0xf bank_mask:0xf// 00000000915C: 7E2402FA FF00B152
	v_perm_b32 v58, v18, v82, v17                              // 000000009164: D1ED003A 0446A512
	v_mov_b32_dpp v18, v83 quad_perm:[1,0,3,2] row_mask:0xf bank_mask:0xf// 00000000916C: 7E2402FA FF00B153
	v_perm_b32 v59, v18, v83, v17                              // 000000009174: D1ED003B 0446A712
	v_mov_b32_dpp v18, v84 quad_perm:[1,0,3,2] row_mask:0xf bank_mask:0xf// 00000000917C: 7E2402FA FF00B154
	v_perm_b32 v60, v18, v84, v17                              // 000000009184: D1ED003C 0446A912
	v_mfma_f32_16x16x16_bf16 v[196:199], v[132:133], v[172:173], v[196:199]// 00000000918C: D3E100C4 07135984
	ds_write_b32 v20, v58 offset:24320                         // 000000009194: D81A5F00 00003A14
	ds_write_b32 v20, v59 offset:24864                         // 00000000919C: D81A6120 00003B14
	v_mfma_f32_16x16x16_bf16 v[200:203], v[134:135], v[172:173], v[200:203]// 0000000091A4: D3E100C8 07235986
	v_mov_b32_dpp v18, v85 quad_perm:[1,0,3,2] row_mask:0xf bank_mask:0xf// 0000000091AC: 7E2402FA FF00B155
	v_perm_b32 v61, v18, v85, v17                              // 0000000091B4: D1ED003D 0446AB12
	v_mov_b32_dpp v18, v86 quad_perm:[1,0,3,2] row_mask:0xf bank_mask:0xf// 0000000091BC: 7E2402FA FF00B156
	v_perm_b32 v62, v18, v86, v17                              // 0000000091C4: D1ED003E 0446AD12
	v_mov_b32_dpp v18, v87 quad_perm:[1,0,3,2] row_mask:0xf bank_mask:0xf// 0000000091CC: 7E2402FA FF00B157
	v_perm_b32 v63, v18, v87, v17                              // 0000000091D4: D1ED003F 0446AF12
	v_mfma_f32_16x16x16_bf16 v[204:207], v[136:137], v[172:173], v[204:207]// 0000000091DC: D3E100CC 07335988
	ds_write_b32 v20, v60 offset:26624                         // 0000000091E4: D81A6800 00003C14
	ds_write_b32 v20, v61 offset:27168                         // 0000000091EC: D81A6A20 00003D14
	ds_write_b32 v20, v62 offset:28928                         // 0000000091F4: D81A7100 00003E14
	ds_write_b32 v20, v63 offset:29472                         // 0000000091FC: D81A7320 00003F14
	v_mfma_f32_16x16x16_bf16 v[208:211], v[138:139], v[172:173], v[208:211]// 000000009204: D3E100D0 0743598A
	v_mfma_f32_16x16x16_bf16 v[212:215], v[132:133], v[174:175], v[212:215]// 00000000920C: D3E100D4 07535D84
	ds_write_b32 v15, v100 offset:4352                         // 000000009214: D81A1100 0000640F
	ds_write_b32 v15, v101 offset:5408                         // 00000000921C: D81A1520 0000650F
	v_mfma_f32_16x16x16_bf16 v[216:219], v[134:135], v[174:175], v[216:219]// 000000009224: D3E100D8 07635D86
	v_mfma_f32_16x16x16_bf16 v[220:223], v[136:137], v[174:175], v[220:223]// 00000000922C: D3E100DC 07735D88
	ds_write_b32 v15, v102 offset:6528                         // 000000009234: D81A1980 0000660F
	ds_write_b32 v15, v103 offset:7584                         // 00000000923C: D81A1DA0 0000670F
	v_mfma_f32_16x16x16_bf16 v[224:227], v[138:139], v[174:175], v[224:227]// 000000009244: D3E100E0 07835D8A
	s_nop 0                                                    // 00000000924C: BF800000
	s_nop 0                                                    // 000000009250: BF800000
	s_nop 0                                                    // 000000009254: BF800000
	s_barrier                                                  // 000000009258: BF8A0000
	v_mfma_f32_16x16x16_bf16 a[112:115], a[96:97], v[76:77], a[112:115]// 00000000925C: D3E18070 0DC29960
	ds_read_b32 v140, v23 offset:39424                         // 000000009264: D86C9A00 8C000017
	ds_read_b32 v144, v23 offset:39488                         // 00000000926C: D86C9A40 90000017
	ds_read_b32 v176, v23 offset:39680                         // 000000009274: D86C9B00 B0000017
	ds_read_b32 v177, v23 offset:39744                         // 00000000927C: D86C9B40 B1000017
	v_mfma_f32_16x16x16_bf16 a[116:119], a[98:99], v[76:77], a[116:119]// 000000009284: D3E18074 0DD29962
	buffer_atomic_add_f32 v156, v6, s[32:35], 0 idxen          // 00000000928C: E1342000 80089C06
	v_mfma_f32_16x16x16_bf16 a[120:123], a[100:101], v[76:77], a[120:123]// 000000009294: D3E18078 0DE29964
	s_waitcnt lgkmcnt(8)                                       // 00000000929C: BF8CC87F
	s_barrier                                                  // 0000000092A0: BF8A0000
	v_mfma_f32_16x16x16_bf16 a[124:127], a[102:103], v[76:77], a[124:127]// 0000000092A4: D3E1807C 0DF29966
	v_mfma_f32_16x16x16_bf16 a[128:131], a[96:97], v[78:79], a[128:131]// 0000000092AC: D3E18080 0E029D60
	ds_read_b128 v[52:55], v19 offset:17408                    // 0000000092B4: D9FE4400 34000013
	v_mfma_f32_16x16x16_bf16 a[132:135], a[98:99], v[78:79], a[132:135]// 0000000092BC: D3E18084 0E129D62
	v_mfma_f32_16x16x16_bf16 a[136:139], a[100:101], v[78:79], a[136:139]// 0000000092C4: D3E18088 0E229D64
	ds_read_b128 v[56:59], v19 offset:18560                    // 0000000092CC: D9FE4880 38000013
	v_mfma_f32_16x16x16_bf16 a[140:143], a[102:103], v[78:79], a[140:143]// 0000000092D4: D3E1808C 0E329D66
	buffer_atomic_add_f32 v157, v7, s[32:35], 0 idxen          // 0000000092DC: E1342000 80089D07
	v_mfma_f32_16x16x16_bf16 a[144:147], a[96:97], v[80:81], a[144:147]// 0000000092E4: D3E18090 0E42A160
	ds_read_b128 v[60:63], v19 offset:19712                    // 0000000092EC: D9FE4D00 3C000013
	v_mfma_f32_16x16x16_bf16 a[148:151], a[98:99], v[80:81], a[148:151]// 0000000092F4: D3E18094 0E52A162
	v_mfma_f32_16x16x16_bf16 a[152:155], a[100:101], v[80:81], a[152:155]// 0000000092FC: D3E18098 0E62A164
	ds_read_b128 v[64:67], v19 offset:20864                    // 000000009304: D9FE5180 40000013
	v_mfma_f32_16x16x16_bf16 a[156:159], a[102:103], v[80:81], a[156:159]// 00000000930C: D3E1809C 0E72A166
	v_mfma_f32_16x16x16_bf16 a[112:115], a[104:105], v[82:83], a[112:115]// 000000009314: D3E18070 0DC2A568
	ds_read_b128 v[68:71], v19 offset:22016                    // 00000000931C: D9FE5600 44000013
	v_mfma_f32_16x16x16_bf16 a[116:119], a[106:107], v[82:83], a[116:119]// 000000009324: D3E18074 0DD2A56A
	buffer_atomic_add_f32 v158, v6, s[32:35], 0 idxen offset:128// 00000000932C: E1342080 80089E06
	v_mfma_f32_16x16x16_bf16 a[120:123], a[108:109], v[82:83], a[120:123]// 000000009334: D3E18078 0DE2A56C
	ds_read_b128 v[72:75], v19 offset:23168                    // 00000000933C: D9FE5A80 48000013
	v_mfma_f32_16x16x16_bf16 a[124:127], a[110:111], v[82:83], a[124:127]// 000000009344: D3E1807C 0DF2A56E
	v_mfma_f32_16x16x16_bf16 a[128:131], a[104:105], v[84:85], a[128:131]// 00000000934C: D3E18080 0E02A968
	ds_write_b32 v15, v104 offset:13056                        // 000000009354: D81A3300 0000680F
	v_mfma_f32_16x16x16_bf16 a[132:135], a[106:107], v[84:85], a[132:135]// 00000000935C: D3E18084 0E12A96A
	v_mfma_f32_16x16x16_bf16 a[136:139], a[108:109], v[84:85], a[136:139]// 000000009364: D3E18088 0E22A96C
	ds_write_b32 v15, v105 offset:14112                        // 00000000936C: D81A3720 0000690F
	v_mfma_f32_16x16x16_bf16 a[140:143], a[110:111], v[84:85], a[140:143]// 000000009374: D3E1808C 0E32A96E
	buffer_atomic_add_f32 v159, v7, s[32:35], 0 idxen offset:128// 00000000937C: E1342080 80089F07
	v_mfma_f32_16x16x16_bf16 a[144:147], a[104:105], v[86:87], a[144:147]// 000000009384: D3E18090 0E42AD68
	ds_write_b32 v15, v106 offset:15232                        // 00000000938C: D81A3B80 00006A0F
	v_mfma_f32_16x16x16_bf16 a[148:151], a[106:107], v[86:87], a[148:151]// 000000009394: D3E18094 0E52AD6A
	v_mfma_f32_16x16x16_bf16 a[152:155], a[108:109], v[86:87], a[152:155]// 00000000939C: D3E18098 0E62AD6C
	ds_write_b32 v15, v107 offset:16288                        // 0000000093A4: D81A3FA0 00006B0F
	v_mfma_f32_16x16x16_bf16 a[156:159], a[110:111], v[86:87], a[156:159]// 0000000093AC: D3E1809C 0E72AD6E
	s_waitcnt vmcnt(8) lgkmcnt(4)                              // 0000000093B4: BF8C0478
	s_barrier                                                  // 0000000093B8: BF8A0000
	v_mfma_f32_16x16x16_bf16 v[148:151], v[52:53], a[24:25], 0 // 0000000093BC: D3E10094 12023134
	ds_read_b128 a[96:99], v12                                 // 0000000093C4: DBFE0000 6000000C
	buffer_load_dword v36, v1, s[8:11], 0 idxen                // 0000000093CC: E0502000 80022401
	v_mfma_f32_16x16x16_bf16 v[148:151], v[54:55], a[28:29], v[148:151]// 0000000093D4: D3E10094 16523936
	v_mul_f32_e32 v140, s48, v140                              // 0000000093DC: 0B191830
	v_mul_f32_e32 v144, s48, v144                              // 0000000093E0: 0B212030
	s_nop 0                                                    // 0000000093E4: BF800000
	v_mfma_f32_16x16x16_bf16 v[148:151], v[56:57], a[32:33], v[148:151]// 0000000093E8: D3E10094 16524138
	ds_read_b128 a[100:103], v12 offset:512                    // 0000000093F0: DBFE0200 6400000C
	buffer_load_dword v37, v2, s[8:11], 0 idxen                // 0000000093F8: E0502000 80022502
	v_mfma_f32_16x16x16_bf16 v[148:151], v[58:59], a[36:37], v[148:151]// 000000009400: D3E10094 1652493A
	v_mfma_f32_16x16x16_bf16 v[148:151], v[60:61], a[40:41], v[148:151]// 000000009408: D3E10094 1652513C
	ds_read_b128 a[104:107], v12 offset:2176                   // 000000009410: DBFE0880 6800000C
	buffer_load_dword v38, v3, s[8:11], 0 idxen                // 000000009418: E0502000 80022603
	v_mfma_f32_16x16x16_bf16 v[148:151], v[62:63], a[44:45], v[148:151]// 000000009420: D3E10094 1652593E
	v_perm_b32 v100, v41, v40, s63                             // 000000009428: D1ED0064 00FE5129
	v_perm_b32 v101, v41, v40, s64                             // 000000009430: D1ED0065 01025129
	v_mfma_f32_16x16x16_bf16 v[148:151], v[64:65], a[48:49], v[148:151]// 000000009438: D3E10094 16526140
	ds_read_b128 a[108:111], v12 offset:2688                   // 000000009440: DBFE0A80 6C00000C
	buffer_load_dword v39, v4, s[8:11], 0 idxen                // 000000009448: E0502000 80022704
	v_mfma_f32_16x16x16_bf16 v[148:151], v[66:67], a[52:53], v[148:151]// 000000009450: D3E10094 16526942
	v_perm_b32 v102, v43, v42, s63                             // 000000009458: D1ED0066 00FE552B
	v_perm_b32 v103, v43, v42, s64                             // 000000009460: D1ED0067 0102552B
	v_mfma_f32_16x16x16_bf16 v[148:151], v[68:69], a[56:57], v[148:151]// 000000009468: D3E10094 16527144
	ds_read_b128 v[108:111], v12 offset:8704                   // 000000009470: D9FE2200 6C00000C
	buffer_load_dword v44, v232, s[20:23], 0 idxen             // 000000009478: E0502000 80052CE8
	v_mfma_f32_16x16x16_bf16 v[148:151], v[70:71], a[60:61], v[148:151]// 000000009480: D3E10094 16527946
	v_perm_b32 v104, v49, v48, s63                             // 000000009488: D1ED0068 00FE6131
	v_perm_b32 v105, v49, v48, s64                             // 000000009490: D1ED0069 01026131
	v_mfma_f32_16x16x16_bf16 v[148:151], v[72:73], a[64:65], v[148:151]// 000000009498: D3E10094 16528148
	ds_read_b128 v[112:115], v12 offset:9216                   // 0000000094A0: D9FE2400 7000000C
	buffer_load_dword v45, v233, s[20:23], 0 idxen             // 0000000094A8: E0502000 80052DE9
	v_mfma_f32_16x16x16_bf16 v[148:151], v[74:75], a[68:69], v[148:151]// 0000000094B0: D3E10094 1652894A
	v_perm_b32 v106, v51, v50, s63                             // 0000000094B8: D1ED006A 00FE6533
	v_perm_b32 v107, v51, v50, s64                             // 0000000094C0: D1ED006B 01026533
	v_mfma_f32_16x16x16_bf16 v[152:155], v[52:53], a[26:27], 0 // 0000000094C8: D3E10098 12023534
	ds_read_b128 v[116:119], v12 offset:10880                  // 0000000094D0: D9FE2A80 7400000C
	buffer_load_dword v46, v234, s[20:23], 0 idxen             // 0000000094D8: E0502000 80052EEA
	v_mfma_f32_16x16x16_bf16 v[152:155], v[54:55], a[30:31], v[152:155]// 0000000094E0: D3E10098 16623D36
	v_mov_b32_dpp v143, v140 quad_perm:[3,3,3,3] row_mask:0xf bank_mask:0xf// 0000000094E8: 7F1E02FA FF00FF8C
	v_mov_b32_dpp v142, v140 quad_perm:[2,2,2,2] row_mask:0xf bank_mask:0xf// 0000000094F0: 7F1C02FA FF00AA8C
	v_mov_b32_dpp v141, v140 quad_perm:[1,1,1,1] row_mask:0xf bank_mask:0xf// 0000000094F8: 7F1A02FA FF00558C
	v_mov_b32_dpp v140, v140 quad_perm:[0,0,0,0] row_mask:0xf bank_mask:0xf// 000000009500: 7F1802FA FF00008C
	v_mfma_f32_16x16x16_bf16 v[152:155], v[56:57], a[34:35], v[152:155]// 000000009508: D3E10098 16624538
	ds_read_b128 v[120:123], v12 offset:11392                  // 000000009510: D9FE2C80 7800000C
	buffer_load_dword v47, v235, s[20:23], 0 idxen             // 000000009518: E0502000 80052FEB
	v_mfma_f32_16x16x16_bf16 v[152:155], v[58:59], a[38:39], v[152:155]// 000000009520: D3E10098 16624D3A
	v_mov_b32_dpp v147, v144 quad_perm:[3,3,3,3] row_mask:0xf bank_mask:0xf// 000000009528: 7F2602FA FF00FF90
	v_mov_b32_dpp v146, v144 quad_perm:[2,2,2,2] row_mask:0xf bank_mask:0xf// 000000009530: 7F2402FA FF00AA90
	v_mov_b32_dpp v145, v144 quad_perm:[1,1,1,1] row_mask:0xf bank_mask:0xf// 000000009538: 7F2202FA FF005590
	v_mov_b32_dpp v144, v144 quad_perm:[0,0,0,0] row_mask:0xf bank_mask:0xf// 000000009540: 7F2002FA FF000090
	s_add_u32 s60, 0x80, s59                                   // 000000009548: 803C3BFF 00000080
	v_mfma_f32_16x16x16_bf16 v[152:155], v[60:61], a[42:43], v[152:155]// 000000009550: D3E10098 1662553C
	buffer_load_dword v11, s[24:27], 0 idxen lds               // 000000009558: E0512000 8006000B
	v_mfma_f32_16x16x16_bf16 v[152:155], v[62:63], a[46:47], v[152:155]// 000000009560: D3E10098 16625D3E
	s_cmp_lt_u32 s60, s58                                      // 000000009568: BF0A3A3C
	s_cselect_b32 s68, s68, 0                                  // 00000000956C: 85448044
	s_cselect_b32 s99, s99, 0                                  // 000000009570: 85638063
	s_cselect_b32 s69, s69, 0                                  // 000000009574: 85458045
	v_mfma_f32_16x16x16_bf16 v[152:155], v[64:65], a[50:51], v[152:155]// 000000009578: D3E10098 16626540
	v_add_u32_e32 v1, s68, v1                                  // 000000009580: 68020244
	v_add_u32_e32 v2, s68, v2                                  // 000000009584: 68040444
	;; [unrolled: 1-line block ×3, first 2 shown]
	v_add_u32_e32 v4, s68, v4                                  // 00000000958C: 68080844
	v_mfma_f32_16x16x16_bf16 v[152:155], v[66:67], a[54:55], v[152:155]// 000000009590: D3E10098 16626D42
	v_add_u32_e32 v232, s99, v232                              // 000000009598: 69D1D063
	v_add_u32_e32 v233, s99, v233                              // 00000000959C: 69D3D263
	v_add_u32_e32 v234, s99, v234                              // 0000000095A0: 69D5D463
	v_add_u32_e32 v235, s99, v235                              // 0000000095A4: 69D7D663
	v_mfma_f32_16x16x16_bf16 v[152:155], v[68:69], a[58:59], v[152:155]// 0000000095A8: D3E10098 16627544
	s_mov_b32 m0, s81                                          // 0000000095B0: BEFC0051
	v_add_u32_e32 v11, s69, v11                                // 0000000095B4: 68161645
	v_mfma_f32_16x16x16_bf16 v[152:155], v[70:71], a[62:63], v[152:155]// 0000000095B8: D3E10098 16627D46
	s_cmp_ge_u32 s59, s73                                      // 0000000095C0: BF09493B
	s_cselect_b32 s66, s67, s66                                // 0000000095C4: 85424243
	v_mfma_f32_16x16x16_bf16 v[152:155], v[72:73], a[66:67], v[152:155]// 0000000095C8: D3E10098 16628548
	s_addk_i32 s59, 0x20                                       // 0000000095D0: B73B0020
	s_nop 0                                                    // 0000000095D4: BF800000
	s_cmp_lt_i32 s59, s58                                      // 0000000095D8: BF043A3B
	v_mfma_f32_16x16x16_bf16 v[152:155], v[74:75], a[70:71], v[152:155]// 0000000095DC: D3E10098 16628D4A
	s_cbranch_scc0 label_0E01                                  // 0000000095E4: BF84F875
	s_branch label_0E04                                        // 0000000095E8: BF82F877

00000000000095ec <label_159F>:
	buffer_atomic_add_f32 v160, v8, s[32:35], 0 idxen          // 0000000095EC: E1342000 8008A008
	buffer_atomic_add_f32 v161, v9, s[32:35], 0 idxen          // 0000000095F4: E1342000 8008A109
	buffer_atomic_add_f32 v162, v8, s[32:35], 0 idxen offset:128// 0000000095FC: E1342080 8008A208
	buffer_atomic_add_f32 v163, v9, s[32:35], 0 idxen offset:128// 000000009604: E1342080 8008A309
	v_add_u32_e32 v6, s66, v6                                  // 00000000960C: 680C0C42
	v_add_u32_e32 v7, s66, v7                                  // 000000009610: 680E0E42
	v_add_u32_e32 v8, s66, v8                                  // 000000009614: 68101042
	v_add_u32_e32 v9, s66, v9                                  // 000000009618: 68121242
	v_lshrrev_b32_e32 v32, 5, v0                               // 00000000961C: 20400085
	v_mul_i32_i24_e32 v27, 0x44, v32                           // 000000009620: 0C3640FF 00000044
	v_and_b32_e32 v32, 31, v0                                  // 000000009628: 2640009F
	v_mul_i32_i24_e32 v33, 2, v32                              // 00000000962C: 0C424082
	v_add_u32_e32 v27, v33, v27                                // 000000009630: 68363721
	s_mul_i32 s60, s46, 0x220                                  // 000000009634: 923CFF2E 00000220
	v_add_u32_e32 v27, s60, v27                                // 00000000963C: 6836363C
	v_lshlrev_b32_e32 v27, 2, v27                              // 000000009640: 24363682
	v_mul_f32_e32 v148, s47, v148                              // 000000009644: 0B29282F
	v_mul_f32_e32 v149, s47, v149                              // 000000009648: 0B2B2A2F
	v_mul_f32_e32 v150, s47, v150                              // 00000000964C: 0B2D2C2F
	v_mul_f32_e32 v151, s47, v151                              // 000000009650: 0B2F2E2F
	v_mul_f32_e32 v152, s47, v152                              // 000000009654: 0B31302F
	v_mul_f32_e32 v153, s47, v153                              // 000000009658: 0B33322F
	v_mul_f32_e32 v154, s47, v154                              // 00000000965C: 0B35342F
	v_mul_f32_e32 v155, s47, v155                              // 000000009660: 0B37362F
	ds_write_b64 v22, v[148:149] offset:31232                  // 000000009664: D89A7A00 00009416
	ds_write_b64 v22, v[150:151] offset:31744                  // 00000000966C: D89A7C00 00009616
	ds_write_b64 v22, v[152:153] offset:32256                  // 000000009674: D89A7E00 00009816
	ds_write_b64 v22, v[154:155] offset:32768                  // 00000000967C: D89A8000 00009A16
	s_waitcnt lgkmcnt(0)                                       // 000000009684: BF8CC07F
	s_barrier                                                  // 000000009688: BF8A0000
	ds_read_b64 v[156:157], v21 offset:31232                   // 00000000968C: D8EC7A00 9C000015
	ds_read_b64 v[158:159], v21 offset:33280                   // 000000009694: D8EC8200 9E000015
	ds_read_b64 v[160:161], v21 offset:35328                   // 00000000969C: D8EC8A00 A0000015
	ds_read_b64 v[162:163], v21 offset:37376                   // 0000000096A4: D8EC9200 A2000015
	s_waitcnt lgkmcnt(0)                                       // 0000000096AC: BF8CC07F
	s_barrier                                                  // 0000000096B0: BF8A0000
	buffer_atomic_add_f32 v156, v6, s[32:35], 0 idxen          // 0000000096B4: E1342000 80089C06
	buffer_atomic_add_f32 v157, v7, s[32:35], 0 idxen          // 0000000096BC: E1342000 80089D07
	buffer_atomic_add_f32 v158, v6, s[32:35], 0 idxen offset:128// 0000000096C4: E1342080 80089E06
	buffer_atomic_add_f32 v159, v7, s[32:35], 0 idxen offset:128// 0000000096CC: E1342080 80089F07
	buffer_atomic_add_f32 v160, v8, s[32:35], 0 idxen          // 0000000096D4: E1342000 8008A008
	buffer_atomic_add_f32 v161, v9, s[32:35], 0 idxen          // 0000000096DC: E1342000 8008A109
	buffer_atomic_add_f32 v162, v8, s[32:35], 0 idxen offset:128// 0000000096E4: E1342080 8008A208
	buffer_atomic_add_f32 v163, v9, s[32:35], 0 idxen offset:128// 0000000096EC: E1342080 8008A309
	v_lshrrev_b32_e32 v32, 3, v0                               // 0000000096F4: 20400083
	v_mul_i32_i24_e32 v26, 2, v32                              // 0000000096F8: 0C344082
	v_and_b32_e32 v32, 7, v0                                   // 0000000096FC: 26400087
	v_mul_i32_i24_e32 v33, 0x44, v32                           // 000000009700: 0C4240FF 00000044
	v_add_u32_e32 v26, v33, v26                                // 000000009708: 68343521
	s_mul_i32 s60, s46, 0x220                                  // 00000000970C: 923CFF2E 00000220
	v_add_u32_e32 v26, s60, v26                                // 000000009714: 6834343C
	v_lshlrev_b32_e32 v26, 2, v26                              // 000000009718: 24343482
	v_accvgpr_read_b32 v34, a112                               // 00000000971C: D3D84022 18000170
	v_accvgpr_read_b32 v35, a113                               // 000000009724: D3D84023 18000171
	v_mul_f32_e32 v34, s47, v34                                // 00000000972C: 0A44442F
	v_mul_f32_e32 v35, s47, v35                                // 000000009730: 0A46462F
	v_cmp_u_f32_e64 s[78:79], v34, v34                         // 000000009734: D048004E 00024522
	v_bfe_u32 v228, v34, 16, 1                                 // 00000000973C: D1C800E4 02052122
	v_add3_u32 v228, v34, v228, v231                           // 000000009744: D1FF00E4 079FC922
	v_cndmask_b32_e64 v32, v228, v230, s[78:79]                // 00000000974C: D1000020 013BCDE4
	v_lshrrev_b32_e32 v32, 16, v32                             // 000000009754: 20404090
	v_cmp_u_f32_e64 s[78:79], v35, v35                         // 000000009758: D048004E 00024723
	v_bfe_u32 v228, v35, 16, 1                                 // 000000009760: D1C800E4 02052123
	v_add3_u32 v228, v35, v228, v231                           // 000000009768: D1FF00E4 079FC923
	v_cndmask_b32_e64 v33, v228, v230, s[78:79]                // 000000009770: D1000021 013BCDE4
	v_and_or_b32 v52, v33, v229, v32                           // 000000009778: D2010034 0483CB21
	v_accvgpr_read_b32 v34, a114                               // 000000009780: D3D84022 18000172
	v_accvgpr_read_b32 v35, a115                               // 000000009788: D3D84023 18000173
	v_mul_f32_e32 v34, s47, v34                                // 000000009790: 0A44442F
	v_mul_f32_e32 v35, s47, v35                                // 000000009794: 0A46462F
	v_cmp_u_f32_e64 s[78:79], v34, v34                         // 000000009798: D048004E 00024522
	v_bfe_u32 v228, v34, 16, 1                                 // 0000000097A0: D1C800E4 02052122
	v_add3_u32 v228, v34, v228, v231                           // 0000000097A8: D1FF00E4 079FC922
	v_cndmask_b32_e64 v32, v228, v230, s[78:79]                // 0000000097B0: D1000020 013BCDE4
	v_lshrrev_b32_e32 v32, 16, v32                             // 0000000097B8: 20404090
	v_cmp_u_f32_e64 s[78:79], v35, v35                         // 0000000097BC: D048004E 00024723
	v_bfe_u32 v228, v35, 16, 1                                 // 0000000097C4: D1C800E4 02052123
	v_add3_u32 v228, v35, v228, v231                           // 0000000097CC: D1FF00E4 079FC923
	v_cndmask_b32_e64 v33, v228, v230, s[78:79]                // 0000000097D4: D1000021 013BCDE4
	v_and_or_b32 v53, v33, v229, v32                           // 0000000097DC: D2010035 0483CB21
	v_accvgpr_read_b32 v34, a116                               // 0000000097E4: D3D84022 18000174
	v_accvgpr_read_b32 v35, a117                               // 0000000097EC: D3D84023 18000175
	v_mul_f32_e32 v34, s47, v34                                // 0000000097F4: 0A44442F
	v_mul_f32_e32 v35, s47, v35                                // 0000000097F8: 0A46462F
	v_cmp_u_f32_e64 s[78:79], v34, v34                         // 0000000097FC: D048004E 00024522
	v_bfe_u32 v228, v34, 16, 1                                 // 000000009804: D1C800E4 02052122
	v_add3_u32 v228, v34, v228, v231                           // 00000000980C: D1FF00E4 079FC922
	v_cndmask_b32_e64 v32, v228, v230, s[78:79]                // 000000009814: D1000020 013BCDE4
	v_lshrrev_b32_e32 v32, 16, v32                             // 00000000981C: 20404090
	v_cmp_u_f32_e64 s[78:79], v35, v35                         // 000000009820: D048004E 00024723
	v_bfe_u32 v228, v35, 16, 1                                 // 000000009828: D1C800E4 02052123
	v_add3_u32 v228, v35, v228, v231                           // 000000009830: D1FF00E4 079FC923
	v_cndmask_b32_e64 v33, v228, v230, s[78:79]                // 000000009838: D1000021 013BCDE4
	v_and_or_b32 v54, v33, v229, v32                           // 000000009840: D2010036 0483CB21
	v_accvgpr_read_b32 v34, a118                               // 000000009848: D3D84022 18000176
	v_accvgpr_read_b32 v35, a119                               // 000000009850: D3D84023 18000177
	v_mul_f32_e32 v34, s47, v34                                // 000000009858: 0A44442F
	v_mul_f32_e32 v35, s47, v35                                // 00000000985C: 0A46462F
	v_cmp_u_f32_e64 s[78:79], v34, v34                         // 000000009860: D048004E 00024522
	v_bfe_u32 v228, v34, 16, 1                                 // 000000009868: D1C800E4 02052122
	v_add3_u32 v228, v34, v228, v231                           // 000000009870: D1FF00E4 079FC922
	v_cndmask_b32_e64 v32, v228, v230, s[78:79]                // 000000009878: D1000020 013BCDE4
	v_lshrrev_b32_e32 v32, 16, v32                             // 000000009880: 20404090
	v_cmp_u_f32_e64 s[78:79], v35, v35                         // 000000009884: D048004E 00024723
	v_bfe_u32 v228, v35, 16, 1                                 // 00000000988C: D1C800E4 02052123
	v_add3_u32 v228, v35, v228, v231                           // 000000009894: D1FF00E4 079FC923
	v_cndmask_b32_e64 v33, v228, v230, s[78:79]                // 00000000989C: D1000021 013BCDE4
	v_and_or_b32 v55, v33, v229, v32                           // 0000000098A4: D2010037 0483CB21
	v_accvgpr_read_b32 v34, a120                               // 0000000098AC: D3D84022 18000178
	v_accvgpr_read_b32 v35, a121                               // 0000000098B4: D3D84023 18000179
	v_mul_f32_e32 v34, s47, v34                                // 0000000098BC: 0A44442F
	v_mul_f32_e32 v35, s47, v35                                // 0000000098C0: 0A46462F
	v_cmp_u_f32_e64 s[78:79], v34, v34                         // 0000000098C4: D048004E 00024522
	v_bfe_u32 v228, v34, 16, 1                                 // 0000000098CC: D1C800E4 02052122
	v_add3_u32 v228, v34, v228, v231                           // 0000000098D4: D1FF00E4 079FC922
	v_cndmask_b32_e64 v32, v228, v230, s[78:79]                // 0000000098DC: D1000020 013BCDE4
	v_lshrrev_b32_e32 v32, 16, v32                             // 0000000098E4: 20404090
	v_cmp_u_f32_e64 s[78:79], v35, v35                         // 0000000098E8: D048004E 00024723
	v_bfe_u32 v228, v35, 16, 1                                 // 0000000098F0: D1C800E4 02052123
	v_add3_u32 v228, v35, v228, v231                           // 0000000098F8: D1FF00E4 079FC923
	v_cndmask_b32_e64 v33, v228, v230, s[78:79]                // 000000009900: D1000021 013BCDE4
	v_and_or_b32 v56, v33, v229, v32                           // 000000009908: D2010038 0483CB21
	v_accvgpr_read_b32 v34, a122                               // 000000009910: D3D84022 1800017A
	v_accvgpr_read_b32 v35, a123                               // 000000009918: D3D84023 1800017B
	v_mul_f32_e32 v34, s47, v34                                // 000000009920: 0A44442F
	v_mul_f32_e32 v35, s47, v35                                // 000000009924: 0A46462F
	v_cmp_u_f32_e64 s[78:79], v34, v34                         // 000000009928: D048004E 00024522
	v_bfe_u32 v228, v34, 16, 1                                 // 000000009930: D1C800E4 02052122
	v_add3_u32 v228, v34, v228, v231                           // 000000009938: D1FF00E4 079FC922
	v_cndmask_b32_e64 v32, v228, v230, s[78:79]                // 000000009940: D1000020 013BCDE4
	v_lshrrev_b32_e32 v32, 16, v32                             // 000000009948: 20404090
	v_cmp_u_f32_e64 s[78:79], v35, v35                         // 00000000994C: D048004E 00024723
	v_bfe_u32 v228, v35, 16, 1                                 // 000000009954: D1C800E4 02052123
	v_add3_u32 v228, v35, v228, v231                           // 00000000995C: D1FF00E4 079FC923
	v_cndmask_b32_e64 v33, v228, v230, s[78:79]                // 000000009964: D1000021 013BCDE4
	v_and_or_b32 v57, v33, v229, v32                           // 00000000996C: D2010039 0483CB21
	v_accvgpr_read_b32 v34, a124                               // 000000009974: D3D84022 1800017C
	v_accvgpr_read_b32 v35, a125                               // 00000000997C: D3D84023 1800017D
	v_mul_f32_e32 v34, s47, v34                                // 000000009984: 0A44442F
	v_mul_f32_e32 v35, s47, v35                                // 000000009988: 0A46462F
	v_cmp_u_f32_e64 s[78:79], v34, v34                         // 00000000998C: D048004E 00024522
	v_bfe_u32 v228, v34, 16, 1                                 // 000000009994: D1C800E4 02052122
	v_add3_u32 v228, v34, v228, v231                           // 00000000999C: D1FF00E4 079FC922
	v_cndmask_b32_e64 v32, v228, v230, s[78:79]                // 0000000099A4: D1000020 013BCDE4
	v_lshrrev_b32_e32 v32, 16, v32                             // 0000000099AC: 20404090
	v_cmp_u_f32_e64 s[78:79], v35, v35                         // 0000000099B0: D048004E 00024723
	v_bfe_u32 v228, v35, 16, 1                                 // 0000000099B8: D1C800E4 02052123
	v_add3_u32 v228, v35, v228, v231                           // 0000000099C0: D1FF00E4 079FC923
	v_cndmask_b32_e64 v33, v228, v230, s[78:79]                // 0000000099C8: D1000021 013BCDE4
	v_and_or_b32 v58, v33, v229, v32                           // 0000000099D0: D201003A 0483CB21
	v_accvgpr_read_b32 v34, a126                               // 0000000099D8: D3D84022 1800017E
	v_accvgpr_read_b32 v35, a127                               // 0000000099E0: D3D84023 1800017F
	v_mul_f32_e32 v34, s47, v34                                // 0000000099E8: 0A44442F
	v_mul_f32_e32 v35, s47, v35                                // 0000000099EC: 0A46462F
	v_cmp_u_f32_e64 s[78:79], v34, v34                         // 0000000099F0: D048004E 00024522
	v_bfe_u32 v228, v34, 16, 1                                 // 0000000099F8: D1C800E4 02052122
	v_add3_u32 v228, v34, v228, v231                           // 000000009A00: D1FF00E4 079FC922
	v_cndmask_b32_e64 v32, v228, v230, s[78:79]                // 000000009A08: D1000020 013BCDE4
	v_lshrrev_b32_e32 v32, 16, v32                             // 000000009A10: 20404090
	v_cmp_u_f32_e64 s[78:79], v35, v35                         // 000000009A14: D048004E 00024723
	v_bfe_u32 v228, v35, 16, 1                                 // 000000009A1C: D1C800E4 02052123
	v_add3_u32 v228, v35, v228, v231                           // 000000009A24: D1FF00E4 079FC923
	v_cndmask_b32_e64 v33, v228, v230, s[78:79]                // 000000009A2C: D1000021 013BCDE4
	v_and_or_b32 v59, v33, v229, v32                           // 000000009A34: D201003B 0483CB21
	ds_write_b64 v27, v[52:53]                                 // 000000009A3C: D89A0000 0000341B
	ds_write_b64 v27, v[54:55] offset:544                      // 000000009A44: D89A0220 0000361B
	ds_write_b64 v27, v[56:57] offset:1088                     // 000000009A4C: D89A0440 0000381B
	ds_write_b64 v27, v[58:59] offset:1632                     // 000000009A54: D89A0660 00003A1B
	s_waitcnt lgkmcnt(0)                                       // 000000009A5C: BF8CC07F
	s_barrier                                                  // 000000009A60: BF8A0000
	ds_read_b64 v[52:53], v26                                  // 000000009A64: D8EC0000 3400001A
	ds_read_b64 v[54:55], v26 offset:128                       // 000000009A6C: D8EC0080 3600001A
	ds_read_b64 v[56:57], v26 offset:64                        // 000000009A74: D8EC0040 3800001A
	ds_read_b64 v[58:59], v26 offset:192                       // 000000009A7C: D8EC00C0 3A00001A
	s_waitcnt lgkmcnt(0)                                       // 000000009A84: BF8CC07F
	s_mov_b32 s70, s52                                         // 000000009A88: BEC60034
	buffer_store_dwordx4 v[52:55], v5, s[36:39], 0 idxen       // 000000009A8C: E07C2000 80093405
	s_mul_i32 s60, 2, s70                                      // 000000009A94: 923C4682
	v_add_u32_e32 v5, s60, v5                                  // 000000009A98: 680A0A3C
	buffer_store_dwordx4 v[56:59], v5, s[36:39], 0 idxen       // 000000009A9C: E07C2000 80093805
	s_mul_i32 s60, 2, s70                                      // 000000009AA4: 923C4682
	v_add_u32_e32 v5, s60, v5                                  // 000000009AA8: 680A0A3C
	s_mul_i32 s60, 12, s70                                     // 000000009AAC: 923C468C
	v_add_u32_e32 v5, s60, v5                                  // 000000009AB0: 680A0A3C
	s_barrier                                                  // 000000009AB4: BF8A0000
	s_cmp_ge_i32 1, s72                                        // 000000009AB8: BF034881
	s_cbranch_scc1 label_18A6                                  // 000000009ABC: BF8501D2
	v_accvgpr_read_b32 v34, a128                               // 000000009AC0: D3D84022 18000180
	v_accvgpr_read_b32 v35, a129                               // 000000009AC8: D3D84023 18000181
	v_mul_f32_e32 v34, s47, v34                                // 000000009AD0: 0A44442F
	v_mul_f32_e32 v35, s47, v35                                // 000000009AD4: 0A46462F
	v_cmp_u_f32_e64 s[78:79], v34, v34                         // 000000009AD8: D048004E 00024522
	v_bfe_u32 v228, v34, 16, 1                                 // 000000009AE0: D1C800E4 02052122
	v_add3_u32 v228, v34, v228, v231                           // 000000009AE8: D1FF00E4 079FC922
	v_cndmask_b32_e64 v32, v228, v230, s[78:79]                // 000000009AF0: D1000020 013BCDE4
	v_lshrrev_b32_e32 v32, 16, v32                             // 000000009AF8: 20404090
	v_cmp_u_f32_e64 s[78:79], v35, v35                         // 000000009AFC: D048004E 00024723
	v_bfe_u32 v228, v35, 16, 1                                 // 000000009B04: D1C800E4 02052123
	v_add3_u32 v228, v35, v228, v231                           // 000000009B0C: D1FF00E4 079FC923
	v_cndmask_b32_e64 v33, v228, v230, s[78:79]                // 000000009B14: D1000021 013BCDE4
	v_and_or_b32 v60, v33, v229, v32                           // 000000009B1C: D201003C 0483CB21
	v_accvgpr_read_b32 v34, a130                               // 000000009B24: D3D84022 18000182
	v_accvgpr_read_b32 v35, a131                               // 000000009B2C: D3D84023 18000183
	v_mul_f32_e32 v34, s47, v34                                // 000000009B34: 0A44442F
	v_mul_f32_e32 v35, s47, v35                                // 000000009B38: 0A46462F
	v_cmp_u_f32_e64 s[78:79], v34, v34                         // 000000009B3C: D048004E 00024522
	v_bfe_u32 v228, v34, 16, 1                                 // 000000009B44: D1C800E4 02052122
	v_add3_u32 v228, v34, v228, v231                           // 000000009B4C: D1FF00E4 079FC922
	v_cndmask_b32_e64 v32, v228, v230, s[78:79]                // 000000009B54: D1000020 013BCDE4
	v_lshrrev_b32_e32 v32, 16, v32                             // 000000009B5C: 20404090
	v_cmp_u_f32_e64 s[78:79], v35, v35                         // 000000009B60: D048004E 00024723
	v_bfe_u32 v228, v35, 16, 1                                 // 000000009B68: D1C800E4 02052123
	v_add3_u32 v228, v35, v228, v231                           // 000000009B70: D1FF00E4 079FC923
	v_cndmask_b32_e64 v33, v228, v230, s[78:79]                // 000000009B78: D1000021 013BCDE4
	v_and_or_b32 v61, v33, v229, v32                           // 000000009B80: D201003D 0483CB21
	v_accvgpr_read_b32 v34, a132                               // 000000009B88: D3D84022 18000184
	v_accvgpr_read_b32 v35, a133                               // 000000009B90: D3D84023 18000185
	v_mul_f32_e32 v34, s47, v34                                // 000000009B98: 0A44442F
	v_mul_f32_e32 v35, s47, v35                                // 000000009B9C: 0A46462F
	v_cmp_u_f32_e64 s[78:79], v34, v34                         // 000000009BA0: D048004E 00024522
	v_bfe_u32 v228, v34, 16, 1                                 // 000000009BA8: D1C800E4 02052122
	v_add3_u32 v228, v34, v228, v231                           // 000000009BB0: D1FF00E4 079FC922
	v_cndmask_b32_e64 v32, v228, v230, s[78:79]                // 000000009BB8: D1000020 013BCDE4
	v_lshrrev_b32_e32 v32, 16, v32                             // 000000009BC0: 20404090
	v_cmp_u_f32_e64 s[78:79], v35, v35                         // 000000009BC4: D048004E 00024723
	v_bfe_u32 v228, v35, 16, 1                                 // 000000009BCC: D1C800E4 02052123
	v_add3_u32 v228, v35, v228, v231                           // 000000009BD4: D1FF00E4 079FC923
	v_cndmask_b32_e64 v33, v228, v230, s[78:79]                // 000000009BDC: D1000021 013BCDE4
	v_and_or_b32 v62, v33, v229, v32                           // 000000009BE4: D201003E 0483CB21
	v_accvgpr_read_b32 v34, a134                               // 000000009BEC: D3D84022 18000186
	v_accvgpr_read_b32 v35, a135                               // 000000009BF4: D3D84023 18000187
	v_mul_f32_e32 v34, s47, v34                                // 000000009BFC: 0A44442F
	v_mul_f32_e32 v35, s47, v35                                // 000000009C00: 0A46462F
	v_cmp_u_f32_e64 s[78:79], v34, v34                         // 000000009C04: D048004E 00024522
	v_bfe_u32 v228, v34, 16, 1                                 // 000000009C0C: D1C800E4 02052122
	v_add3_u32 v228, v34, v228, v231                           // 000000009C14: D1FF00E4 079FC922
	v_cndmask_b32_e64 v32, v228, v230, s[78:79]                // 000000009C1C: D1000020 013BCDE4
	v_lshrrev_b32_e32 v32, 16, v32                             // 000000009C24: 20404090
	v_cmp_u_f32_e64 s[78:79], v35, v35                         // 000000009C28: D048004E 00024723
	v_bfe_u32 v228, v35, 16, 1                                 // 000000009C30: D1C800E4 02052123
	v_add3_u32 v228, v35, v228, v231                           // 000000009C38: D1FF00E4 079FC923
	v_cndmask_b32_e64 v33, v228, v230, s[78:79]                // 000000009C40: D1000021 013BCDE4
	v_and_or_b32 v63, v33, v229, v32                           // 000000009C48: D201003F 0483CB21
	v_accvgpr_read_b32 v34, a136                               // 000000009C50: D3D84022 18000188
	v_accvgpr_read_b32 v35, a137                               // 000000009C58: D3D84023 18000189
	v_mul_f32_e32 v34, s47, v34                                // 000000009C60: 0A44442F
	v_mul_f32_e32 v35, s47, v35                                // 000000009C64: 0A46462F
	v_cmp_u_f32_e64 s[78:79], v34, v34                         // 000000009C68: D048004E 00024522
	v_bfe_u32 v228, v34, 16, 1                                 // 000000009C70: D1C800E4 02052122
	v_add3_u32 v228, v34, v228, v231                           // 000000009C78: D1FF00E4 079FC922
	v_cndmask_b32_e64 v32, v228, v230, s[78:79]                // 000000009C80: D1000020 013BCDE4
	v_lshrrev_b32_e32 v32, 16, v32                             // 000000009C88: 20404090
	v_cmp_u_f32_e64 s[78:79], v35, v35                         // 000000009C8C: D048004E 00024723
	v_bfe_u32 v228, v35, 16, 1                                 // 000000009C94: D1C800E4 02052123
	v_add3_u32 v228, v35, v228, v231                           // 000000009C9C: D1FF00E4 079FC923
	v_cndmask_b32_e64 v33, v228, v230, s[78:79]                // 000000009CA4: D1000021 013BCDE4
	v_and_or_b32 v64, v33, v229, v32                           // 000000009CAC: D2010040 0483CB21
	v_accvgpr_read_b32 v34, a138                               // 000000009CB4: D3D84022 1800018A
	v_accvgpr_read_b32 v35, a139                               // 000000009CBC: D3D84023 1800018B
	v_mul_f32_e32 v34, s47, v34                                // 000000009CC4: 0A44442F
	v_mul_f32_e32 v35, s47, v35                                // 000000009CC8: 0A46462F
	v_cmp_u_f32_e64 s[78:79], v34, v34                         // 000000009CCC: D048004E 00024522
	v_bfe_u32 v228, v34, 16, 1                                 // 000000009CD4: D1C800E4 02052122
	v_add3_u32 v228, v34, v228, v231                           // 000000009CDC: D1FF00E4 079FC922
	v_cndmask_b32_e64 v32, v228, v230, s[78:79]                // 000000009CE4: D1000020 013BCDE4
	v_lshrrev_b32_e32 v32, 16, v32                             // 000000009CEC: 20404090
	v_cmp_u_f32_e64 s[78:79], v35, v35                         // 000000009CF0: D048004E 00024723
	v_bfe_u32 v228, v35, 16, 1                                 // 000000009CF8: D1C800E4 02052123
	v_add3_u32 v228, v35, v228, v231                           // 000000009D00: D1FF00E4 079FC923
	v_cndmask_b32_e64 v33, v228, v230, s[78:79]                // 000000009D08: D1000021 013BCDE4
	v_and_or_b32 v65, v33, v229, v32                           // 000000009D10: D2010041 0483CB21
	v_accvgpr_read_b32 v34, a140                               // 000000009D18: D3D84022 1800018C
	v_accvgpr_read_b32 v35, a141                               // 000000009D20: D3D84023 1800018D
	v_mul_f32_e32 v34, s47, v34                                // 000000009D28: 0A44442F
	v_mul_f32_e32 v35, s47, v35                                // 000000009D2C: 0A46462F
	v_cmp_u_f32_e64 s[78:79], v34, v34                         // 000000009D30: D048004E 00024522
	v_bfe_u32 v228, v34, 16, 1                                 // 000000009D38: D1C800E4 02052122
	v_add3_u32 v228, v34, v228, v231                           // 000000009D40: D1FF00E4 079FC922
	v_cndmask_b32_e64 v32, v228, v230, s[78:79]                // 000000009D48: D1000020 013BCDE4
	v_lshrrev_b32_e32 v32, 16, v32                             // 000000009D50: 20404090
	v_cmp_u_f32_e64 s[78:79], v35, v35                         // 000000009D54: D048004E 00024723
	v_bfe_u32 v228, v35, 16, 1                                 // 000000009D5C: D1C800E4 02052123
	v_add3_u32 v228, v35, v228, v231                           // 000000009D64: D1FF00E4 079FC923
	v_cndmask_b32_e64 v33, v228, v230, s[78:79]                // 000000009D6C: D1000021 013BCDE4
	v_and_or_b32 v66, v33, v229, v32                           // 000000009D74: D2010042 0483CB21
	v_accvgpr_read_b32 v34, a142                               // 000000009D7C: D3D84022 1800018E
	v_accvgpr_read_b32 v35, a143                               // 000000009D84: D3D84023 1800018F
	v_mul_f32_e32 v34, s47, v34                                // 000000009D8C: 0A44442F
	v_mul_f32_e32 v35, s47, v35                                // 000000009D90: 0A46462F
	v_cmp_u_f32_e64 s[78:79], v34, v34                         // 000000009D94: D048004E 00024522
	v_bfe_u32 v228, v34, 16, 1                                 // 000000009D9C: D1C800E4 02052122
	v_add3_u32 v228, v34, v228, v231                           // 000000009DA4: D1FF00E4 079FC922
	v_cndmask_b32_e64 v32, v228, v230, s[78:79]                // 000000009DAC: D1000020 013BCDE4
	v_lshrrev_b32_e32 v32, 16, v32                             // 000000009DB4: 20404090
	v_cmp_u_f32_e64 s[78:79], v35, v35                         // 000000009DB8: D048004E 00024723
	v_bfe_u32 v228, v35, 16, 1                                 // 000000009DC0: D1C800E4 02052123
	v_add3_u32 v228, v35, v228, v231                           // 000000009DC8: D1FF00E4 079FC923
	v_cndmask_b32_e64 v33, v228, v230, s[78:79]                // 000000009DD0: D1000021 013BCDE4
	v_and_or_b32 v67, v33, v229, v32                           // 000000009DD8: D2010043 0483CB21
	ds_write_b64 v27, v[60:61] offset:8704                     // 000000009DE0: D89A2200 00003C1B
	ds_write_b64 v27, v[62:63] offset:9248                     // 000000009DE8: D89A2420 00003E1B
	ds_write_b64 v27, v[64:65] offset:9792                     // 000000009DF0: D89A2640 0000401B
	ds_write_b64 v27, v[66:67] offset:10336                    // 000000009DF8: D89A2860 0000421B
	s_waitcnt lgkmcnt(0)                                       // 000000009E00: BF8CC07F
	s_barrier                                                  // 000000009E04: BF8A0000
	ds_read_b64 v[60:61], v26 offset:8704                      // 000000009E08: D8EC2200 3C00001A
	ds_read_b64 v[62:63], v26 offset:8832                      // 000000009E10: D8EC2280 3E00001A
	ds_read_b64 v[64:65], v26 offset:8768                      // 000000009E18: D8EC2240 4000001A
	ds_read_b64 v[66:67], v26 offset:8896                      // 000000009E20: D8EC22C0 4200001A
	s_waitcnt lgkmcnt(0)                                       // 000000009E28: BF8CC07F
	s_mov_b32 s70, s52                                         // 000000009E2C: BEC60034
	buffer_store_dwordx4 v[60:63], v5, s[36:39], 0 idxen       // 000000009E30: E07C2000 80093C05
	s_mul_i32 s60, 2, s70                                      // 000000009E38: 923C4682
	v_add_u32_e32 v5, s60, v5                                  // 000000009E3C: 680A0A3C
	buffer_store_dwordx4 v[64:67], v5, s[36:39], 0 idxen       // 000000009E40: E07C2000 80094005
	s_mul_i32 s60, 2, s70                                      // 000000009E48: 923C4682
	v_add_u32_e32 v5, s60, v5                                  // 000000009E4C: 680A0A3C
	s_mul_i32 s60, 12, s70                                     // 000000009E50: 923C468C
	v_add_u32_e32 v5, s60, v5                                  // 000000009E54: 680A0A3C
	s_barrier                                                  // 000000009E58: BF8A0000
	s_cmp_ge_i32 2, s72                                        // 000000009E5C: BF034882
	s_cbranch_scc1 label_18A6                                  // 000000009E60: BF8500E9
	v_accvgpr_read_b32 v34, a144                               // 000000009E64: D3D84022 18000190
	v_accvgpr_read_b32 v35, a145                               // 000000009E6C: D3D84023 18000191
	v_mul_f32_e32 v34, s47, v34                                // 000000009E74: 0A44442F
	v_mul_f32_e32 v35, s47, v35                                // 000000009E78: 0A46462F
	v_cmp_u_f32_e64 s[78:79], v34, v34                         // 000000009E7C: D048004E 00024522
	v_bfe_u32 v228, v34, 16, 1                                 // 000000009E84: D1C800E4 02052122
	v_add3_u32 v228, v34, v228, v231                           // 000000009E8C: D1FF00E4 079FC922
	v_cndmask_b32_e64 v32, v228, v230, s[78:79]                // 000000009E94: D1000020 013BCDE4
	v_lshrrev_b32_e32 v32, 16, v32                             // 000000009E9C: 20404090
	v_cmp_u_f32_e64 s[78:79], v35, v35                         // 000000009EA0: D048004E 00024723
	v_bfe_u32 v228, v35, 16, 1                                 // 000000009EA8: D1C800E4 02052123
	v_add3_u32 v228, v35, v228, v231                           // 000000009EB0: D1FF00E4 079FC923
	v_cndmask_b32_e64 v33, v228, v230, s[78:79]                // 000000009EB8: D1000021 013BCDE4
	v_and_or_b32 v68, v33, v229, v32                           // 000000009EC0: D2010044 0483CB21
	v_accvgpr_read_b32 v34, a146                               // 000000009EC8: D3D84022 18000192
	v_accvgpr_read_b32 v35, a147                               // 000000009ED0: D3D84023 18000193
	v_mul_f32_e32 v34, s47, v34                                // 000000009ED8: 0A44442F
	v_mul_f32_e32 v35, s47, v35                                // 000000009EDC: 0A46462F
	v_cmp_u_f32_e64 s[78:79], v34, v34                         // 000000009EE0: D048004E 00024522
	v_bfe_u32 v228, v34, 16, 1                                 // 000000009EE8: D1C800E4 02052122
	v_add3_u32 v228, v34, v228, v231                           // 000000009EF0: D1FF00E4 079FC922
	v_cndmask_b32_e64 v32, v228, v230, s[78:79]                // 000000009EF8: D1000020 013BCDE4
	v_lshrrev_b32_e32 v32, 16, v32                             // 000000009F00: 20404090
	v_cmp_u_f32_e64 s[78:79], v35, v35                         // 000000009F04: D048004E 00024723
	v_bfe_u32 v228, v35, 16, 1                                 // 000000009F0C: D1C800E4 02052123
	v_add3_u32 v228, v35, v228, v231                           // 000000009F14: D1FF00E4 079FC923
	v_cndmask_b32_e64 v33, v228, v230, s[78:79]                // 000000009F1C: D1000021 013BCDE4
	v_and_or_b32 v69, v33, v229, v32                           // 000000009F24: D2010045 0483CB21
	v_accvgpr_read_b32 v34, a148                               // 000000009F2C: D3D84022 18000194
	v_accvgpr_read_b32 v35, a149                               // 000000009F34: D3D84023 18000195
	v_mul_f32_e32 v34, s47, v34                                // 000000009F3C: 0A44442F
	v_mul_f32_e32 v35, s47, v35                                // 000000009F40: 0A46462F
	v_cmp_u_f32_e64 s[78:79], v34, v34                         // 000000009F44: D048004E 00024522
	v_bfe_u32 v228, v34, 16, 1                                 // 000000009F4C: D1C800E4 02052122
	v_add3_u32 v228, v34, v228, v231                           // 000000009F54: D1FF00E4 079FC922
	v_cndmask_b32_e64 v32, v228, v230, s[78:79]                // 000000009F5C: D1000020 013BCDE4
	v_lshrrev_b32_e32 v32, 16, v32                             // 000000009F64: 20404090
	v_cmp_u_f32_e64 s[78:79], v35, v35                         // 000000009F68: D048004E 00024723
	v_bfe_u32 v228, v35, 16, 1                                 // 000000009F70: D1C800E4 02052123
	v_add3_u32 v228, v35, v228, v231                           // 000000009F78: D1FF00E4 079FC923
	v_cndmask_b32_e64 v33, v228, v230, s[78:79]                // 000000009F80: D1000021 013BCDE4
	v_and_or_b32 v70, v33, v229, v32                           // 000000009F88: D2010046 0483CB21
	v_accvgpr_read_b32 v34, a150                               // 000000009F90: D3D84022 18000196
	v_accvgpr_read_b32 v35, a151                               // 000000009F98: D3D84023 18000197
	v_mul_f32_e32 v34, s47, v34                                // 000000009FA0: 0A44442F
	v_mul_f32_e32 v35, s47, v35                                // 000000009FA4: 0A46462F
	v_cmp_u_f32_e64 s[78:79], v34, v34                         // 000000009FA8: D048004E 00024522
	v_bfe_u32 v228, v34, 16, 1                                 // 000000009FB0: D1C800E4 02052122
	v_add3_u32 v228, v34, v228, v231                           // 000000009FB8: D1FF00E4 079FC922
	v_cndmask_b32_e64 v32, v228, v230, s[78:79]                // 000000009FC0: D1000020 013BCDE4
	v_lshrrev_b32_e32 v32, 16, v32                             // 000000009FC8: 20404090
	v_cmp_u_f32_e64 s[78:79], v35, v35                         // 000000009FCC: D048004E 00024723
	v_bfe_u32 v228, v35, 16, 1                                 // 000000009FD4: D1C800E4 02052123
	v_add3_u32 v228, v35, v228, v231                           // 000000009FDC: D1FF00E4 079FC923
	v_cndmask_b32_e64 v33, v228, v230, s[78:79]                // 000000009FE4: D1000021 013BCDE4
	v_and_or_b32 v71, v33, v229, v32                           // 000000009FEC: D2010047 0483CB21
	v_accvgpr_read_b32 v34, a152                               // 000000009FF4: D3D84022 18000198
	v_accvgpr_read_b32 v35, a153                               // 000000009FFC: D3D84023 18000199
	v_mul_f32_e32 v34, s47, v34                                // 00000000A004: 0A44442F
	v_mul_f32_e32 v35, s47, v35                                // 00000000A008: 0A46462F
	v_cmp_u_f32_e64 s[78:79], v34, v34                         // 00000000A00C: D048004E 00024522
	v_bfe_u32 v228, v34, 16, 1                                 // 00000000A014: D1C800E4 02052122
	v_add3_u32 v228, v34, v228, v231                           // 00000000A01C: D1FF00E4 079FC922
	v_cndmask_b32_e64 v32, v228, v230, s[78:79]                // 00000000A024: D1000020 013BCDE4
	v_lshrrev_b32_e32 v32, 16, v32                             // 00000000A02C: 20404090
	v_cmp_u_f32_e64 s[78:79], v35, v35                         // 00000000A030: D048004E 00024723
	v_bfe_u32 v228, v35, 16, 1                                 // 00000000A038: D1C800E4 02052123
	v_add3_u32 v228, v35, v228, v231                           // 00000000A040: D1FF00E4 079FC923
	v_cndmask_b32_e64 v33, v228, v230, s[78:79]                // 00000000A048: D1000021 013BCDE4
	v_and_or_b32 v72, v33, v229, v32                           // 00000000A050: D2010048 0483CB21
	v_accvgpr_read_b32 v34, a154                               // 00000000A058: D3D84022 1800019A
	v_accvgpr_read_b32 v35, a155                               // 00000000A060: D3D84023 1800019B
	v_mul_f32_e32 v34, s47, v34                                // 00000000A068: 0A44442F
	v_mul_f32_e32 v35, s47, v35                                // 00000000A06C: 0A46462F
	v_cmp_u_f32_e64 s[78:79], v34, v34                         // 00000000A070: D048004E 00024522
	v_bfe_u32 v228, v34, 16, 1                                 // 00000000A078: D1C800E4 02052122
	v_add3_u32 v228, v34, v228, v231                           // 00000000A080: D1FF00E4 079FC922
	v_cndmask_b32_e64 v32, v228, v230, s[78:79]                // 00000000A088: D1000020 013BCDE4
	v_lshrrev_b32_e32 v32, 16, v32                             // 00000000A090: 20404090
	v_cmp_u_f32_e64 s[78:79], v35, v35                         // 00000000A094: D048004E 00024723
	v_bfe_u32 v228, v35, 16, 1                                 // 00000000A09C: D1C800E4 02052123
	v_add3_u32 v228, v35, v228, v231                           // 00000000A0A4: D1FF00E4 079FC923
	v_cndmask_b32_e64 v33, v228, v230, s[78:79]                // 00000000A0AC: D1000021 013BCDE4
	v_and_or_b32 v73, v33, v229, v32                           // 00000000A0B4: D2010049 0483CB21
	v_accvgpr_read_b32 v34, a156                               // 00000000A0BC: D3D84022 1800019C
	v_accvgpr_read_b32 v35, a157                               // 00000000A0C4: D3D84023 1800019D
	v_mul_f32_e32 v34, s47, v34                                // 00000000A0CC: 0A44442F
	v_mul_f32_e32 v35, s47, v35                                // 00000000A0D0: 0A46462F
	v_cmp_u_f32_e64 s[78:79], v34, v34                         // 00000000A0D4: D048004E 00024522
	v_bfe_u32 v228, v34, 16, 1                                 // 00000000A0DC: D1C800E4 02052122
	v_add3_u32 v228, v34, v228, v231                           // 00000000A0E4: D1FF00E4 079FC922
	v_cndmask_b32_e64 v32, v228, v230, s[78:79]                // 00000000A0EC: D1000020 013BCDE4
	v_lshrrev_b32_e32 v32, 16, v32                             // 00000000A0F4: 20404090
	v_cmp_u_f32_e64 s[78:79], v35, v35                         // 00000000A0F8: D048004E 00024723
	v_bfe_u32 v228, v35, 16, 1                                 // 00000000A100: D1C800E4 02052123
	v_add3_u32 v228, v35, v228, v231                           // 00000000A108: D1FF00E4 079FC923
	v_cndmask_b32_e64 v33, v228, v230, s[78:79]                // 00000000A110: D1000021 013BCDE4
	v_and_or_b32 v74, v33, v229, v32                           // 00000000A118: D201004A 0483CB21
	v_accvgpr_read_b32 v34, a158                               // 00000000A120: D3D84022 1800019E
	v_accvgpr_read_b32 v35, a159                               // 00000000A128: D3D84023 1800019F
	v_mul_f32_e32 v34, s47, v34                                // 00000000A130: 0A44442F
	v_mul_f32_e32 v35, s47, v35                                // 00000000A134: 0A46462F
	v_cmp_u_f32_e64 s[78:79], v34, v34                         // 00000000A138: D048004E 00024522
	v_bfe_u32 v228, v34, 16, 1                                 // 00000000A140: D1C800E4 02052122
	v_add3_u32 v228, v34, v228, v231                           // 00000000A148: D1FF00E4 079FC922
	v_cndmask_b32_e64 v32, v228, v230, s[78:79]                // 00000000A150: D1000020 013BCDE4
	v_lshrrev_b32_e32 v32, 16, v32                             // 00000000A158: 20404090
	v_cmp_u_f32_e64 s[78:79], v35, v35                         // 00000000A15C: D048004E 00024723
	v_bfe_u32 v228, v35, 16, 1                                 // 00000000A164: D1C800E4 02052123
	v_add3_u32 v228, v35, v228, v231                           // 00000000A16C: D1FF00E4 079FC923
	v_cndmask_b32_e64 v33, v228, v230, s[78:79]                // 00000000A174: D1000021 013BCDE4
	v_and_or_b32 v75, v33, v229, v32                           // 00000000A17C: D201004B 0483CB21
	ds_write_b64 v27, v[68:69] offset:17408                    // 00000000A184: D89A4400 0000441B
	ds_write_b64 v27, v[70:71] offset:17952                    // 00000000A18C: D89A4620 0000461B
	ds_write_b64 v27, v[72:73] offset:18496                    // 00000000A194: D89A4840 0000481B
	ds_write_b64 v27, v[74:75] offset:19040                    // 00000000A19C: D89A4A60 00004A1B
	s_waitcnt lgkmcnt(0)                                       // 00000000A1A4: BF8CC07F
	s_barrier                                                  // 00000000A1A8: BF8A0000
	ds_read_b64 v[68:69], v26 offset:17408                     // 00000000A1AC: D8EC4400 4400001A
	ds_read_b64 v[70:71], v26 offset:17536                     // 00000000A1B4: D8EC4480 4600001A
	ds_read_b64 v[72:73], v26 offset:17472                     // 00000000A1BC: D8EC4440 4800001A
	ds_read_b64 v[74:75], v26 offset:17600                     // 00000000A1C4: D8EC44C0 4A00001A
	s_waitcnt lgkmcnt(0)                                       // 00000000A1CC: BF8CC07F
	s_mov_b32 s70, s52                                         // 00000000A1D0: BEC60034
	buffer_store_dwordx4 v[68:71], v5, s[36:39], 0 idxen       // 00000000A1D4: E07C2000 80094405
	s_mul_i32 s60, 2, s70                                      // 00000000A1DC: 923C4682
	v_add_u32_e32 v5, s60, v5                                  // 00000000A1E0: 680A0A3C
	buffer_store_dwordx4 v[72:75], v5, s[36:39], 0 idxen       // 00000000A1E4: E07C2000 80094805
	s_mul_i32 s60, 2, s70                                      // 00000000A1EC: 923C4682
	v_add_u32_e32 v5, s60, v5                                  // 00000000A1F0: 680A0A3C
	s_mul_i32 s60, 12, s70                                     // 00000000A1F4: 923C468C
	v_add_u32_e32 v5, s60, v5                                  // 00000000A1F8: 680A0A3C
	s_barrier                                                  // 00000000A1FC: BF8A0000
	s_cmp_ge_i32 3, s72                                        // 00000000A200: BF034883
	s_cbranch_scc1 label_18A6                                  // 00000000A204: BF850000

000000000000a208 <label_18A6>:
	v_mov_b32_e32 v34, v180                                    // 00000000A208: 7E4403B4
	v_mov_b32_e32 v35, v181                                    // 00000000A20C: 7E4603B5
	v_cmp_u_f32_e64 s[78:79], v34, v34                         // 00000000A210: D048004E 00024522
	v_bfe_u32 v228, v34, 16, 1                                 // 00000000A218: D1C800E4 02052122
	v_add3_u32 v228, v34, v228, v231                           // 00000000A220: D1FF00E4 079FC922
	v_cndmask_b32_e64 v32, v228, v230, s[78:79]                // 00000000A228: D1000020 013BCDE4
	v_lshrrev_b32_e32 v32, 16, v32                             // 00000000A230: 20404090
	v_cmp_u_f32_e64 s[78:79], v35, v35                         // 00000000A234: D048004E 00024723
	v_bfe_u32 v228, v35, 16, 1                                 // 00000000A23C: D1C800E4 02052123
	v_add3_u32 v228, v35, v228, v231                           // 00000000A244: D1FF00E4 079FC923
	v_cndmask_b32_e64 v33, v228, v230, s[78:79]                // 00000000A24C: D1000021 013BCDE4
	v_and_or_b32 v180, v33, v229, v32                          // 00000000A254: D20100B4 0483CB21
	v_mov_b32_e32 v34, v182                                    // 00000000A25C: 7E4403B6
	v_mov_b32_e32 v35, v183                                    // 00000000A260: 7E4603B7
	v_cmp_u_f32_e64 s[78:79], v34, v34                         // 00000000A264: D048004E 00024522
	v_bfe_u32 v228, v34, 16, 1                                 // 00000000A26C: D1C800E4 02052122
	v_add3_u32 v228, v34, v228, v231                           // 00000000A274: D1FF00E4 079FC922
	v_cndmask_b32_e64 v32, v228, v230, s[78:79]                // 00000000A27C: D1000020 013BCDE4
	v_lshrrev_b32_e32 v32, 16, v32                             // 00000000A284: 20404090
	v_cmp_u_f32_e64 s[78:79], v35, v35                         // 00000000A288: D048004E 00024723
	v_bfe_u32 v228, v35, 16, 1                                 // 00000000A290: D1C800E4 02052123
	v_add3_u32 v228, v35, v228, v231                           // 00000000A298: D1FF00E4 079FC923
	v_cndmask_b32_e64 v33, v228, v230, s[78:79]                // 00000000A2A0: D1000021 013BCDE4
	v_and_or_b32 v181, v33, v229, v32                          // 00000000A2A8: D20100B5 0483CB21
	v_mov_b32_e32 v34, v184                                    // 00000000A2B0: 7E4403B8
	v_mov_b32_e32 v35, v185                                    // 00000000A2B4: 7E4603B9
	v_cmp_u_f32_e64 s[78:79], v34, v34                         // 00000000A2B8: D048004E 00024522
	v_bfe_u32 v228, v34, 16, 1                                 // 00000000A2C0: D1C800E4 02052122
	v_add3_u32 v228, v34, v228, v231                           // 00000000A2C8: D1FF00E4 079FC922
	v_cndmask_b32_e64 v32, v228, v230, s[78:79]                // 00000000A2D0: D1000020 013BCDE4
	v_lshrrev_b32_e32 v32, 16, v32                             // 00000000A2D8: 20404090
	v_cmp_u_f32_e64 s[78:79], v35, v35                         // 00000000A2DC: D048004E 00024723
	v_bfe_u32 v228, v35, 16, 1                                 // 00000000A2E4: D1C800E4 02052123
	v_add3_u32 v228, v35, v228, v231                           // 00000000A2EC: D1FF00E4 079FC923
	v_cndmask_b32_e64 v33, v228, v230, s[78:79]                // 00000000A2F4: D1000021 013BCDE4
	v_and_or_b32 v182, v33, v229, v32                          // 00000000A2FC: D20100B6 0483CB21
	v_mov_b32_e32 v34, v186                                    // 00000000A304: 7E4403BA
	v_mov_b32_e32 v35, v187                                    // 00000000A308: 7E4603BB
	v_cmp_u_f32_e64 s[78:79], v34, v34                         // 00000000A30C: D048004E 00024522
	v_bfe_u32 v228, v34, 16, 1                                 // 00000000A314: D1C800E4 02052122
	v_add3_u32 v228, v34, v228, v231                           // 00000000A31C: D1FF00E4 079FC922
	v_cndmask_b32_e64 v32, v228, v230, s[78:79]                // 00000000A324: D1000020 013BCDE4
	v_lshrrev_b32_e32 v32, 16, v32                             // 00000000A32C: 20404090
	v_cmp_u_f32_e64 s[78:79], v35, v35                         // 00000000A330: D048004E 00024723
	v_bfe_u32 v228, v35, 16, 1                                 // 00000000A338: D1C800E4 02052123
	v_add3_u32 v228, v35, v228, v231                           // 00000000A340: D1FF00E4 079FC923
	v_cndmask_b32_e64 v33, v228, v230, s[78:79]                // 00000000A348: D1000021 013BCDE4
	v_and_or_b32 v183, v33, v229, v32                          // 00000000A350: D20100B7 0483CB21
	v_mov_b32_e32 v34, v188                                    // 00000000A358: 7E4403BC
	v_mov_b32_e32 v35, v189                                    // 00000000A35C: 7E4603BD
	v_cmp_u_f32_e64 s[78:79], v34, v34                         // 00000000A360: D048004E 00024522
	v_bfe_u32 v228, v34, 16, 1                                 // 00000000A368: D1C800E4 02052122
	v_add3_u32 v228, v34, v228, v231                           // 00000000A370: D1FF00E4 079FC922
	v_cndmask_b32_e64 v32, v228, v230, s[78:79]                // 00000000A378: D1000020 013BCDE4
	v_lshrrev_b32_e32 v32, 16, v32                             // 00000000A380: 20404090
	v_cmp_u_f32_e64 s[78:79], v35, v35                         // 00000000A384: D048004E 00024723
	v_bfe_u32 v228, v35, 16, 1                                 // 00000000A38C: D1C800E4 02052123
	v_add3_u32 v228, v35, v228, v231                           // 00000000A394: D1FF00E4 079FC923
	v_cndmask_b32_e64 v33, v228, v230, s[78:79]                // 00000000A39C: D1000021 013BCDE4
	v_and_or_b32 v184, v33, v229, v32                          // 00000000A3A4: D20100B8 0483CB21
	v_mov_b32_e32 v34, v190                                    // 00000000A3AC: 7E4403BE
	v_mov_b32_e32 v35, v191                                    // 00000000A3B0: 7E4603BF
	v_cmp_u_f32_e64 s[78:79], v34, v34                         // 00000000A3B4: D048004E 00024522
	v_bfe_u32 v228, v34, 16, 1                                 // 00000000A3BC: D1C800E4 02052122
	v_add3_u32 v228, v34, v228, v231                           // 00000000A3C4: D1FF00E4 079FC922
	v_cndmask_b32_e64 v32, v228, v230, s[78:79]                // 00000000A3CC: D1000020 013BCDE4
	v_lshrrev_b32_e32 v32, 16, v32                             // 00000000A3D4: 20404090
	v_cmp_u_f32_e64 s[78:79], v35, v35                         // 00000000A3D8: D048004E 00024723
	v_bfe_u32 v228, v35, 16, 1                                 // 00000000A3E0: D1C800E4 02052123
	v_add3_u32 v228, v35, v228, v231                           // 00000000A3E8: D1FF00E4 079FC923
	v_cndmask_b32_e64 v33, v228, v230, s[78:79]                // 00000000A3F0: D1000021 013BCDE4
	v_and_or_b32 v185, v33, v229, v32                          // 00000000A3F8: D20100B9 0483CB21
	v_mov_b32_e32 v34, v192                                    // 00000000A400: 7E4403C0
	v_mov_b32_e32 v35, v193                                    // 00000000A404: 7E4603C1
	v_cmp_u_f32_e64 s[78:79], v34, v34                         // 00000000A408: D048004E 00024522
	v_bfe_u32 v228, v34, 16, 1                                 // 00000000A410: D1C800E4 02052122
	v_add3_u32 v228, v34, v228, v231                           // 00000000A418: D1FF00E4 079FC922
	v_cndmask_b32_e64 v32, v228, v230, s[78:79]                // 00000000A420: D1000020 013BCDE4
	v_lshrrev_b32_e32 v32, 16, v32                             // 00000000A428: 20404090
	v_cmp_u_f32_e64 s[78:79], v35, v35                         // 00000000A42C: D048004E 00024723
	v_bfe_u32 v228, v35, 16, 1                                 // 00000000A434: D1C800E4 02052123
	v_add3_u32 v228, v35, v228, v231                           // 00000000A43C: D1FF00E4 079FC923
	v_cndmask_b32_e64 v33, v228, v230, s[78:79]                // 00000000A444: D1000021 013BCDE4
	v_and_or_b32 v186, v33, v229, v32                          // 00000000A44C: D20100BA 0483CB21
	v_mov_b32_e32 v34, v194                                    // 00000000A454: 7E4403C2
	v_mov_b32_e32 v35, v195                                    // 00000000A458: 7E4603C3
	v_cmp_u_f32_e64 s[78:79], v34, v34                         // 00000000A45C: D048004E 00024522
	v_bfe_u32 v228, v34, 16, 1                                 // 00000000A464: D1C800E4 02052122
	v_add3_u32 v228, v34, v228, v231                           // 00000000A46C: D1FF00E4 079FC922
	v_cndmask_b32_e64 v32, v228, v230, s[78:79]                // 00000000A474: D1000020 013BCDE4
	v_lshrrev_b32_e32 v32, 16, v32                             // 00000000A47C: 20404090
	v_cmp_u_f32_e64 s[78:79], v35, v35                         // 00000000A480: D048004E 00024723
	v_bfe_u32 v228, v35, 16, 1                                 // 00000000A488: D1C800E4 02052123
	v_add3_u32 v228, v35, v228, v231                           // 00000000A490: D1FF00E4 079FC923
	v_cndmask_b32_e64 v33, v228, v230, s[78:79]                // 00000000A498: D1000021 013BCDE4
	v_and_or_b32 v187, v33, v229, v32                          // 00000000A4A0: D20100BB 0483CB21
	ds_write_b64 v27, v[180:181]                               // 00000000A4A8: D89A0000 0000B41B
	ds_write_b64 v27, v[182:183] offset:544                    // 00000000A4B0: D89A0220 0000B61B
	ds_write_b64 v27, v[184:185] offset:1088                   // 00000000A4B8: D89A0440 0000B81B
	ds_write_b64 v27, v[186:187] offset:1632                   // 00000000A4C0: D89A0660 0000BA1B
	s_waitcnt lgkmcnt(0)                                       // 00000000A4C8: BF8CC07F
	s_barrier                                                  // 00000000A4CC: BF8A0000
	ds_read_b64 v[180:181], v26                                // 00000000A4D0: D8EC0000 B400001A
	ds_read_b64 v[182:183], v26 offset:128                     // 00000000A4D8: D8EC0080 B600001A
	ds_read_b64 v[184:185], v26 offset:64                      // 00000000A4E0: D8EC0040 B800001A
	ds_read_b64 v[186:187], v26 offset:192                     // 00000000A4E8: D8EC00C0 BA00001A
	s_waitcnt lgkmcnt(0)                                       // 00000000A4F0: BF8CC07F
	s_mov_b32 s70, s53                                         // 00000000A4F4: BEC60035
	buffer_store_dwordx4 v[180:183], v10, s[40:43], 0 idxen    // 00000000A4F8: E07C2000 800AB40A
	s_mul_i32 s60, 2, s70                                      // 00000000A500: 923C4682
	v_add_u32_e32 v10, s60, v10                                // 00000000A504: 6814143C
	buffer_store_dwordx4 v[184:187], v10, s[40:43], 0 idxen    // 00000000A508: E07C2000 800AB80A
	s_mul_i32 s60, 2, s70                                      // 00000000A510: 923C4682
	v_add_u32_e32 v10, s60, v10                                // 00000000A514: 6814143C
	s_mul_i32 s60, 12, s70                                     // 00000000A518: 923C468C
	v_add_u32_e32 v10, s60, v10                                // 00000000A51C: 6814143C
	s_cmp_ge_i32 1, s72                                        // 00000000A520: BF034881
	s_cbranch_scc1 label_1AFE                                  // 00000000A524: BF850190
	v_mov_b32_e32 v34, v196                                    // 00000000A528: 7E4403C4
	v_mov_b32_e32 v35, v197                                    // 00000000A52C: 7E4603C5
	v_cmp_u_f32_e64 s[78:79], v34, v34                         // 00000000A530: D048004E 00024522
	v_bfe_u32 v228, v34, 16, 1                                 // 00000000A538: D1C800E4 02052122
	v_add3_u32 v228, v34, v228, v231                           // 00000000A540: D1FF00E4 079FC922
	v_cndmask_b32_e64 v32, v228, v230, s[78:79]                // 00000000A548: D1000020 013BCDE4
	v_lshrrev_b32_e32 v32, 16, v32                             // 00000000A550: 20404090
	v_cmp_u_f32_e64 s[78:79], v35, v35                         // 00000000A554: D048004E 00024723
	v_bfe_u32 v228, v35, 16, 1                                 // 00000000A55C: D1C800E4 02052123
	v_add3_u32 v228, v35, v228, v231                           // 00000000A564: D1FF00E4 079FC923
	v_cndmask_b32_e64 v33, v228, v230, s[78:79]                // 00000000A56C: D1000021 013BCDE4
	v_and_or_b32 v188, v33, v229, v32                          // 00000000A574: D20100BC 0483CB21
	v_mov_b32_e32 v34, v198                                    // 00000000A57C: 7E4403C6
	v_mov_b32_e32 v35, v199                                    // 00000000A580: 7E4603C7
	v_cmp_u_f32_e64 s[78:79], v34, v34                         // 00000000A584: D048004E 00024522
	v_bfe_u32 v228, v34, 16, 1                                 // 00000000A58C: D1C800E4 02052122
	v_add3_u32 v228, v34, v228, v231                           // 00000000A594: D1FF00E4 079FC922
	v_cndmask_b32_e64 v32, v228, v230, s[78:79]                // 00000000A59C: D1000020 013BCDE4
	v_lshrrev_b32_e32 v32, 16, v32                             // 00000000A5A4: 20404090
	v_cmp_u_f32_e64 s[78:79], v35, v35                         // 00000000A5A8: D048004E 00024723
	v_bfe_u32 v228, v35, 16, 1                                 // 00000000A5B0: D1C800E4 02052123
	v_add3_u32 v228, v35, v228, v231                           // 00000000A5B8: D1FF00E4 079FC923
	v_cndmask_b32_e64 v33, v228, v230, s[78:79]                // 00000000A5C0: D1000021 013BCDE4
	v_and_or_b32 v189, v33, v229, v32                          // 00000000A5C8: D20100BD 0483CB21
	v_mov_b32_e32 v34, v200                                    // 00000000A5D0: 7E4403C8
	v_mov_b32_e32 v35, v201                                    // 00000000A5D4: 7E4603C9
	v_cmp_u_f32_e64 s[78:79], v34, v34                         // 00000000A5D8: D048004E 00024522
	v_bfe_u32 v228, v34, 16, 1                                 // 00000000A5E0: D1C800E4 02052122
	v_add3_u32 v228, v34, v228, v231                           // 00000000A5E8: D1FF00E4 079FC922
	v_cndmask_b32_e64 v32, v228, v230, s[78:79]                // 00000000A5F0: D1000020 013BCDE4
	v_lshrrev_b32_e32 v32, 16, v32                             // 00000000A5F8: 20404090
	v_cmp_u_f32_e64 s[78:79], v35, v35                         // 00000000A5FC: D048004E 00024723
	v_bfe_u32 v228, v35, 16, 1                                 // 00000000A604: D1C800E4 02052123
	v_add3_u32 v228, v35, v228, v231                           // 00000000A60C: D1FF00E4 079FC923
	v_cndmask_b32_e64 v33, v228, v230, s[78:79]                // 00000000A614: D1000021 013BCDE4
	v_and_or_b32 v190, v33, v229, v32                          // 00000000A61C: D20100BE 0483CB21
	v_mov_b32_e32 v34, v202                                    // 00000000A624: 7E4403CA
	v_mov_b32_e32 v35, v203                                    // 00000000A628: 7E4603CB
	v_cmp_u_f32_e64 s[78:79], v34, v34                         // 00000000A62C: D048004E 00024522
	v_bfe_u32 v228, v34, 16, 1                                 // 00000000A634: D1C800E4 02052122
	v_add3_u32 v228, v34, v228, v231                           // 00000000A63C: D1FF00E4 079FC922
	v_cndmask_b32_e64 v32, v228, v230, s[78:79]                // 00000000A644: D1000020 013BCDE4
	v_lshrrev_b32_e32 v32, 16, v32                             // 00000000A64C: 20404090
	v_cmp_u_f32_e64 s[78:79], v35, v35                         // 00000000A650: D048004E 00024723
	v_bfe_u32 v228, v35, 16, 1                                 // 00000000A658: D1C800E4 02052123
	v_add3_u32 v228, v35, v228, v231                           // 00000000A660: D1FF00E4 079FC923
	v_cndmask_b32_e64 v33, v228, v230, s[78:79]                // 00000000A668: D1000021 013BCDE4
	v_and_or_b32 v191, v33, v229, v32                          // 00000000A670: D20100BF 0483CB21
	v_mov_b32_e32 v34, v204                                    // 00000000A678: 7E4403CC
	v_mov_b32_e32 v35, v205                                    // 00000000A67C: 7E4603CD
	v_cmp_u_f32_e64 s[78:79], v34, v34                         // 00000000A680: D048004E 00024522
	v_bfe_u32 v228, v34, 16, 1                                 // 00000000A688: D1C800E4 02052122
	v_add3_u32 v228, v34, v228, v231                           // 00000000A690: D1FF00E4 079FC922
	v_cndmask_b32_e64 v32, v228, v230, s[78:79]                // 00000000A698: D1000020 013BCDE4
	v_lshrrev_b32_e32 v32, 16, v32                             // 00000000A6A0: 20404090
	v_cmp_u_f32_e64 s[78:79], v35, v35                         // 00000000A6A4: D048004E 00024723
	v_bfe_u32 v228, v35, 16, 1                                 // 00000000A6AC: D1C800E4 02052123
	v_add3_u32 v228, v35, v228, v231                           // 00000000A6B4: D1FF00E4 079FC923
	v_cndmask_b32_e64 v33, v228, v230, s[78:79]                // 00000000A6BC: D1000021 013BCDE4
	v_and_or_b32 v192, v33, v229, v32                          // 00000000A6C4: D20100C0 0483CB21
	v_mov_b32_e32 v34, v206                                    // 00000000A6CC: 7E4403CE
	v_mov_b32_e32 v35, v207                                    // 00000000A6D0: 7E4603CF
	v_cmp_u_f32_e64 s[78:79], v34, v34                         // 00000000A6D4: D048004E 00024522
	v_bfe_u32 v228, v34, 16, 1                                 // 00000000A6DC: D1C800E4 02052122
	v_add3_u32 v228, v34, v228, v231                           // 00000000A6E4: D1FF00E4 079FC922
	v_cndmask_b32_e64 v32, v228, v230, s[78:79]                // 00000000A6EC: D1000020 013BCDE4
	v_lshrrev_b32_e32 v32, 16, v32                             // 00000000A6F4: 20404090
	v_cmp_u_f32_e64 s[78:79], v35, v35                         // 00000000A6F8: D048004E 00024723
	v_bfe_u32 v228, v35, 16, 1                                 // 00000000A700: D1C800E4 02052123
	v_add3_u32 v228, v35, v228, v231                           // 00000000A708: D1FF00E4 079FC923
	v_cndmask_b32_e64 v33, v228, v230, s[78:79]                // 00000000A710: D1000021 013BCDE4
	v_and_or_b32 v193, v33, v229, v32                          // 00000000A718: D20100C1 0483CB21
	v_mov_b32_e32 v34, v208                                    // 00000000A720: 7E4403D0
	v_mov_b32_e32 v35, v209                                    // 00000000A724: 7E4603D1
	v_cmp_u_f32_e64 s[78:79], v34, v34                         // 00000000A728: D048004E 00024522
	v_bfe_u32 v228, v34, 16, 1                                 // 00000000A730: D1C800E4 02052122
	v_add3_u32 v228, v34, v228, v231                           // 00000000A738: D1FF00E4 079FC922
	v_cndmask_b32_e64 v32, v228, v230, s[78:79]                // 00000000A740: D1000020 013BCDE4
	v_lshrrev_b32_e32 v32, 16, v32                             // 00000000A748: 20404090
	v_cmp_u_f32_e64 s[78:79], v35, v35                         // 00000000A74C: D048004E 00024723
	v_bfe_u32 v228, v35, 16, 1                                 // 00000000A754: D1C800E4 02052123
	v_add3_u32 v228, v35, v228, v231                           // 00000000A75C: D1FF00E4 079FC923
	v_cndmask_b32_e64 v33, v228, v230, s[78:79]                // 00000000A764: D1000021 013BCDE4
	v_and_or_b32 v194, v33, v229, v32                          // 00000000A76C: D20100C2 0483CB21
	v_mov_b32_e32 v34, v210                                    // 00000000A774: 7E4403D2
	v_mov_b32_e32 v35, v211                                    // 00000000A778: 7E4603D3
	v_cmp_u_f32_e64 s[78:79], v34, v34                         // 00000000A77C: D048004E 00024522
	v_bfe_u32 v228, v34, 16, 1                                 // 00000000A784: D1C800E4 02052122
	v_add3_u32 v228, v34, v228, v231                           // 00000000A78C: D1FF00E4 079FC922
	v_cndmask_b32_e64 v32, v228, v230, s[78:79]                // 00000000A794: D1000020 013BCDE4
	v_lshrrev_b32_e32 v32, 16, v32                             // 00000000A79C: 20404090
	v_cmp_u_f32_e64 s[78:79], v35, v35                         // 00000000A7A0: D048004E 00024723
	v_bfe_u32 v228, v35, 16, 1                                 // 00000000A7A8: D1C800E4 02052123
	v_add3_u32 v228, v35, v228, v231                           // 00000000A7B0: D1FF00E4 079FC923
	v_cndmask_b32_e64 v33, v228, v230, s[78:79]                // 00000000A7B8: D1000021 013BCDE4
	v_and_or_b32 v195, v33, v229, v32                          // 00000000A7C0: D20100C3 0483CB21
	ds_write_b64 v27, v[188:189] offset:8704                   // 00000000A7C8: D89A2200 0000BC1B
	ds_write_b64 v27, v[190:191] offset:9248                   // 00000000A7D0: D89A2420 0000BE1B
	ds_write_b64 v27, v[192:193] offset:9792                   // 00000000A7D8: D89A2640 0000C01B
	ds_write_b64 v27, v[194:195] offset:10336                  // 00000000A7E0: D89A2860 0000C21B
	s_waitcnt lgkmcnt(0)                                       // 00000000A7E8: BF8CC07F
	s_barrier                                                  // 00000000A7EC: BF8A0000
	ds_read_b64 v[188:189], v26 offset:8704                    // 00000000A7F0: D8EC2200 BC00001A
	ds_read_b64 v[190:191], v26 offset:8832                    // 00000000A7F8: D8EC2280 BE00001A
	ds_read_b64 v[192:193], v26 offset:8768                    // 00000000A800: D8EC2240 C000001A
	ds_read_b64 v[194:195], v26 offset:8896                    // 00000000A808: D8EC22C0 C200001A
	s_waitcnt lgkmcnt(0)                                       // 00000000A810: BF8CC07F
	s_mov_b32 s70, s53                                         // 00000000A814: BEC60035
	buffer_store_dwordx4 v[188:191], v10, s[40:43], 0 idxen    // 00000000A818: E07C2000 800ABC0A
	s_mul_i32 s60, 2, s70                                      // 00000000A820: 923C4682
	v_add_u32_e32 v10, s60, v10                                // 00000000A824: 6814143C
	buffer_store_dwordx4 v[192:195], v10, s[40:43], 0 idxen    // 00000000A828: E07C2000 800AC00A
	s_mul_i32 s60, 2, s70                                      // 00000000A830: 923C4682
	v_add_u32_e32 v10, s60, v10                                // 00000000A834: 6814143C
	s_mul_i32 s60, 12, s70                                     // 00000000A838: 923C468C
	v_add_u32_e32 v10, s60, v10                                // 00000000A83C: 6814143C
	s_cmp_ge_i32 2, s72                                        // 00000000A840: BF034882
	s_cbranch_scc1 label_1AFE                                  // 00000000A844: BF8500C8
	v_mov_b32_e32 v34, v212                                    // 00000000A848: 7E4403D4
	v_mov_b32_e32 v35, v213                                    // 00000000A84C: 7E4603D5
	v_cmp_u_f32_e64 s[78:79], v34, v34                         // 00000000A850: D048004E 00024522
	v_bfe_u32 v228, v34, 16, 1                                 // 00000000A858: D1C800E4 02052122
	v_add3_u32 v228, v34, v228, v231                           // 00000000A860: D1FF00E4 079FC922
	v_cndmask_b32_e64 v32, v228, v230, s[78:79]                // 00000000A868: D1000020 013BCDE4
	v_lshrrev_b32_e32 v32, 16, v32                             // 00000000A870: 20404090
	v_cmp_u_f32_e64 s[78:79], v35, v35                         // 00000000A874: D048004E 00024723
	v_bfe_u32 v228, v35, 16, 1                                 // 00000000A87C: D1C800E4 02052123
	v_add3_u32 v228, v35, v228, v231                           // 00000000A884: D1FF00E4 079FC923
	v_cndmask_b32_e64 v33, v228, v230, s[78:79]                // 00000000A88C: D1000021 013BCDE4
	v_and_or_b32 v196, v33, v229, v32                          // 00000000A894: D20100C4 0483CB21
	v_mov_b32_e32 v34, v214                                    // 00000000A89C: 7E4403D6
	v_mov_b32_e32 v35, v215                                    // 00000000A8A0: 7E4603D7
	v_cmp_u_f32_e64 s[78:79], v34, v34                         // 00000000A8A4: D048004E 00024522
	v_bfe_u32 v228, v34, 16, 1                                 // 00000000A8AC: D1C800E4 02052122
	v_add3_u32 v228, v34, v228, v231                           // 00000000A8B4: D1FF00E4 079FC922
	v_cndmask_b32_e64 v32, v228, v230, s[78:79]                // 00000000A8BC: D1000020 013BCDE4
	v_lshrrev_b32_e32 v32, 16, v32                             // 00000000A8C4: 20404090
	v_cmp_u_f32_e64 s[78:79], v35, v35                         // 00000000A8C8: D048004E 00024723
	v_bfe_u32 v228, v35, 16, 1                                 // 00000000A8D0: D1C800E4 02052123
	v_add3_u32 v228, v35, v228, v231                           // 00000000A8D8: D1FF00E4 079FC923
	v_cndmask_b32_e64 v33, v228, v230, s[78:79]                // 00000000A8E0: D1000021 013BCDE4
	v_and_or_b32 v197, v33, v229, v32                          // 00000000A8E8: D20100C5 0483CB21
	v_mov_b32_e32 v34, v216                                    // 00000000A8F0: 7E4403D8
	v_mov_b32_e32 v35, v217                                    // 00000000A8F4: 7E4603D9
	v_cmp_u_f32_e64 s[78:79], v34, v34                         // 00000000A8F8: D048004E 00024522
	v_bfe_u32 v228, v34, 16, 1                                 // 00000000A900: D1C800E4 02052122
	v_add3_u32 v228, v34, v228, v231                           // 00000000A908: D1FF00E4 079FC922
	v_cndmask_b32_e64 v32, v228, v230, s[78:79]                // 00000000A910: D1000020 013BCDE4
	v_lshrrev_b32_e32 v32, 16, v32                             // 00000000A918: 20404090
	v_cmp_u_f32_e64 s[78:79], v35, v35                         // 00000000A91C: D048004E 00024723
	v_bfe_u32 v228, v35, 16, 1                                 // 00000000A924: D1C800E4 02052123
	v_add3_u32 v228, v35, v228, v231                           // 00000000A92C: D1FF00E4 079FC923
	v_cndmask_b32_e64 v33, v228, v230, s[78:79]                // 00000000A934: D1000021 013BCDE4
	v_and_or_b32 v198, v33, v229, v32                          // 00000000A93C: D20100C6 0483CB21
	v_mov_b32_e32 v34, v218                                    // 00000000A944: 7E4403DA
	v_mov_b32_e32 v35, v219                                    // 00000000A948: 7E4603DB
	v_cmp_u_f32_e64 s[78:79], v34, v34                         // 00000000A94C: D048004E 00024522
	v_bfe_u32 v228, v34, 16, 1                                 // 00000000A954: D1C800E4 02052122
	v_add3_u32 v228, v34, v228, v231                           // 00000000A95C: D1FF00E4 079FC922
	v_cndmask_b32_e64 v32, v228, v230, s[78:79]                // 00000000A964: D1000020 013BCDE4
	v_lshrrev_b32_e32 v32, 16, v32                             // 00000000A96C: 20404090
	v_cmp_u_f32_e64 s[78:79], v35, v35                         // 00000000A970: D048004E 00024723
	v_bfe_u32 v228, v35, 16, 1                                 // 00000000A978: D1C800E4 02052123
	v_add3_u32 v228, v35, v228, v231                           // 00000000A980: D1FF00E4 079FC923
	v_cndmask_b32_e64 v33, v228, v230, s[78:79]                // 00000000A988: D1000021 013BCDE4
	v_and_or_b32 v199, v33, v229, v32                          // 00000000A990: D20100C7 0483CB21
	v_mov_b32_e32 v34, v220                                    // 00000000A998: 7E4403DC
	v_mov_b32_e32 v35, v221                                    // 00000000A99C: 7E4603DD
	v_cmp_u_f32_e64 s[78:79], v34, v34                         // 00000000A9A0: D048004E 00024522
	v_bfe_u32 v228, v34, 16, 1                                 // 00000000A9A8: D1C800E4 02052122
	v_add3_u32 v228, v34, v228, v231                           // 00000000A9B0: D1FF00E4 079FC922
	v_cndmask_b32_e64 v32, v228, v230, s[78:79]                // 00000000A9B8: D1000020 013BCDE4
	v_lshrrev_b32_e32 v32, 16, v32                             // 00000000A9C0: 20404090
	v_cmp_u_f32_e64 s[78:79], v35, v35                         // 00000000A9C4: D048004E 00024723
	v_bfe_u32 v228, v35, 16, 1                                 // 00000000A9CC: D1C800E4 02052123
	v_add3_u32 v228, v35, v228, v231                           // 00000000A9D4: D1FF00E4 079FC923
	v_cndmask_b32_e64 v33, v228, v230, s[78:79]                // 00000000A9DC: D1000021 013BCDE4
	v_and_or_b32 v200, v33, v229, v32                          // 00000000A9E4: D20100C8 0483CB21
	v_mov_b32_e32 v34, v222                                    // 00000000A9EC: 7E4403DE
	v_mov_b32_e32 v35, v223                                    // 00000000A9F0: 7E4603DF
	v_cmp_u_f32_e64 s[78:79], v34, v34                         // 00000000A9F4: D048004E 00024522
	v_bfe_u32 v228, v34, 16, 1                                 // 00000000A9FC: D1C800E4 02052122
	v_add3_u32 v228, v34, v228, v231                           // 00000000AA04: D1FF00E4 079FC922
	v_cndmask_b32_e64 v32, v228, v230, s[78:79]                // 00000000AA0C: D1000020 013BCDE4
	v_lshrrev_b32_e32 v32, 16, v32                             // 00000000AA14: 20404090
	v_cmp_u_f32_e64 s[78:79], v35, v35                         // 00000000AA18: D048004E 00024723
	v_bfe_u32 v228, v35, 16, 1                                 // 00000000AA20: D1C800E4 02052123
	v_add3_u32 v228, v35, v228, v231                           // 00000000AA28: D1FF00E4 079FC923
	v_cndmask_b32_e64 v33, v228, v230, s[78:79]                // 00000000AA30: D1000021 013BCDE4
	v_and_or_b32 v201, v33, v229, v32                          // 00000000AA38: D20100C9 0483CB21
	v_mov_b32_e32 v34, v224                                    // 00000000AA40: 7E4403E0
	v_mov_b32_e32 v35, v225                                    // 00000000AA44: 7E4603E1
	v_cmp_u_f32_e64 s[78:79], v34, v34                         // 00000000AA48: D048004E 00024522
	v_bfe_u32 v228, v34, 16, 1                                 // 00000000AA50: D1C800E4 02052122
	v_add3_u32 v228, v34, v228, v231                           // 00000000AA58: D1FF00E4 079FC922
	v_cndmask_b32_e64 v32, v228, v230, s[78:79]                // 00000000AA60: D1000020 013BCDE4
	v_lshrrev_b32_e32 v32, 16, v32                             // 00000000AA68: 20404090
	v_cmp_u_f32_e64 s[78:79], v35, v35                         // 00000000AA6C: D048004E 00024723
	v_bfe_u32 v228, v35, 16, 1                                 // 00000000AA74: D1C800E4 02052123
	v_add3_u32 v228, v35, v228, v231                           // 00000000AA7C: D1FF00E4 079FC923
	v_cndmask_b32_e64 v33, v228, v230, s[78:79]                // 00000000AA84: D1000021 013BCDE4
	v_and_or_b32 v202, v33, v229, v32                          // 00000000AA8C: D20100CA 0483CB21
	v_mov_b32_e32 v34, v226                                    // 00000000AA94: 7E4403E2
	v_mov_b32_e32 v35, v227                                    // 00000000AA98: 7E4603E3
	v_cmp_u_f32_e64 s[78:79], v34, v34                         // 00000000AA9C: D048004E 00024522
	v_bfe_u32 v228, v34, 16, 1                                 // 00000000AAA4: D1C800E4 02052122
	v_add3_u32 v228, v34, v228, v231                           // 00000000AAAC: D1FF00E4 079FC922
	v_cndmask_b32_e64 v32, v228, v230, s[78:79]                // 00000000AAB4: D1000020 013BCDE4
	v_lshrrev_b32_e32 v32, 16, v32                             // 00000000AABC: 20404090
	v_cmp_u_f32_e64 s[78:79], v35, v35                         // 00000000AAC0: D048004E 00024723
	v_bfe_u32 v228, v35, 16, 1                                 // 00000000AAC8: D1C800E4 02052123
	v_add3_u32 v228, v35, v228, v231                           // 00000000AAD0: D1FF00E4 079FC923
	v_cndmask_b32_e64 v33, v228, v230, s[78:79]                // 00000000AAD8: D1000021 013BCDE4
	v_and_or_b32 v203, v33, v229, v32                          // 00000000AAE0: D20100CB 0483CB21
	ds_write_b64 v27, v[196:197] offset:17408                  // 00000000AAE8: D89A4400 0000C41B
	ds_write_b64 v27, v[198:199] offset:17952                  // 00000000AAF0: D89A4620 0000C61B
	ds_write_b64 v27, v[200:201] offset:18496                  // 00000000AAF8: D89A4840 0000C81B
	ds_write_b64 v27, v[202:203] offset:19040                  // 00000000AB00: D89A4A60 0000CA1B
	s_waitcnt lgkmcnt(0)                                       // 00000000AB08: BF8CC07F
	s_barrier                                                  // 00000000AB0C: BF8A0000
	ds_read_b64 v[196:197], v26 offset:17408                   // 00000000AB10: D8EC4400 C400001A
	ds_read_b64 v[198:199], v26 offset:17536                   // 00000000AB18: D8EC4480 C600001A
	ds_read_b64 v[200:201], v26 offset:17472                   // 00000000AB20: D8EC4440 C800001A
	ds_read_b64 v[202:203], v26 offset:17600                   // 00000000AB28: D8EC44C0 CA00001A
	s_waitcnt lgkmcnt(0)                                       // 00000000AB30: BF8CC07F
	s_mov_b32 s70, s53                                         // 00000000AB34: BEC60035
	buffer_store_dwordx4 v[196:199], v10, s[40:43], 0 idxen    // 00000000AB38: E07C2000 800AC40A
	s_mul_i32 s60, 2, s70                                      // 00000000AB40: 923C4682
	v_add_u32_e32 v10, s60, v10                                // 00000000AB44: 6814143C
	buffer_store_dwordx4 v[200:203], v10, s[40:43], 0 idxen    // 00000000AB48: E07C2000 800AC80A
	s_mul_i32 s60, 2, s70                                      // 00000000AB50: 923C4682
	v_add_u32_e32 v10, s60, v10                                // 00000000AB54: 6814143C
	s_mul_i32 s60, 12, s70                                     // 00000000AB58: 923C468C
	v_add_u32_e32 v10, s60, v10                                // 00000000AB5C: 6814143C
	s_cmp_ge_i32 3, s72                                        // 00000000AB60: BF034883
	s_cbranch_scc1 label_1AFE                                  // 00000000AB64: BF850000

000000000000ab68 <label_1AFE>:
	s_waitcnt vmcnt(0) expcnt(0) lgkmcnt(0)                    // 00000000AB68: BF8C0000
	s_sub_i32 s60, s77, 1                                      // 00000000AB6C: 81BC814D
	s_sub_i32 s2, s60, s2                                      // 00000000AB70: 8182023C
	s_addk_i32 s75, 0x1                                        // 00000000AB74: B74B0001
	s_cmp_lt_i32 s75, s76                                      // 00000000AB78: BF044C4B
	s_cbranch_scc1 label_0153                                  // 00000000AB7C: BF85E673
	s_endpgm                                                   // 00000000AB80: BF810000
